;; amdgpu-corpus repo=ROCm/rocFFT kind=compiled arch=gfx906 opt=O3
	.text
	.amdgcn_target "amdgcn-amd-amdhsa--gfx906"
	.amdhsa_code_object_version 6
	.protected	bluestein_single_back_len1089_dim1_sp_op_CI_CI ; -- Begin function bluestein_single_back_len1089_dim1_sp_op_CI_CI
	.globl	bluestein_single_back_len1089_dim1_sp_op_CI_CI
	.p2align	8
	.type	bluestein_single_back_len1089_dim1_sp_op_CI_CI,@function
bluestein_single_back_len1089_dim1_sp_op_CI_CI: ; @bluestein_single_back_len1089_dim1_sp_op_CI_CI
; %bb.0:
	s_load_dwordx4 s[16:19], s[4:5], 0x28
	v_mul_u32_u24_e32 v1, 0x21e, v0
	v_add_u32_sdwa v76, s6, v1 dst_sel:DWORD dst_unused:UNUSED_PAD src0_sel:DWORD src1_sel:WORD_1
	v_mov_b32_e32 v77, 0
	s_waitcnt lgkmcnt(0)
	v_cmp_gt_u64_e32 vcc, s[16:17], v[76:77]
	s_and_saveexec_b64 s[0:1], vcc
	s_cbranch_execz .LBB0_18
; %bb.1:
	s_load_dwordx4 s[0:3], s[4:5], 0x18
	s_load_dwordx4 s[12:15], s[4:5], 0x0
	v_mov_b32_e32 v14, 0xffffed18
                                        ; implicit-def: $vgpr40
	s_waitcnt lgkmcnt(0)
	s_load_dwordx4 s[8:11], s[0:1], 0x0
	s_movk_i32 s0, 0x79
	v_mul_lo_u16_sdwa v1, v1, s0 dst_sel:DWORD dst_unused:UNUSED_PAD src0_sel:WORD_1 src1_sel:DWORD
	v_sub_u16_e32 v96, v0, v1
	v_lshlrev_b32_e32 v95, 3, v96
	s_waitcnt lgkmcnt(0)
	v_mad_u64_u32 v[0:1], s[6:7], s10, v76, 0
	v_mad_u64_u32 v[2:3], s[6:7], s8, v96, 0
	s_mul_i32 s1, s9, 0xb58
	s_mul_i32 s10, s8, 0xb58
	v_mad_u64_u32 v[4:5], s[6:7], s11, v76, v[1:2]
	global_load_dwordx2 v[85:86], v95, s[12:13] offset:2904
	v_mad_u64_u32 v[5:6], s[6:7], s9, v96, v[3:4]
	v_mov_b32_e32 v1, v4
	v_lshlrev_b64 v[0:1], 3, v[0:1]
	v_mov_b32_e32 v6, s19
	v_mov_b32_e32 v3, v5
	v_add_co_u32_e32 v4, vcc, s18, v0
	v_addc_co_u32_e32 v5, vcc, v6, v1, vcc
	v_lshlrev_b64 v[0:1], 3, v[2:3]
	v_mov_b32_e32 v2, s13
	v_add_co_u32_e32 v0, vcc, v4, v0
	v_addc_co_u32_e32 v1, vcc, v5, v1, vcc
	v_add_co_u32_e32 v12, vcc, s12, v95
	s_mul_hi_u32 s6, s8, 0xb58
	v_addc_co_u32_e32 v13, vcc, 0, v2, vcc
	s_add_i32 s1, s6, s1
	v_mov_b32_e32 v3, s1
	v_add_co_u32_e32 v2, vcc, s10, v0
	v_addc_co_u32_e32 v3, vcc, v1, v3, vcc
	v_mov_b32_e32 v5, s1
	v_add_co_u32_e32 v4, vcc, s10, v2
	v_addc_co_u32_e32 v5, vcc, v3, v5, vcc
	s_movk_i32 s6, 0x1000
	global_load_dwordx2 v[6:7], v[0:1], off
	global_load_dwordx2 v[8:9], v[2:3], off
	;; [unrolled: 1-line block ×3, first 2 shown]
	v_add_co_u32_e32 v0, vcc, s6, v12
	v_mad_u64_u32 v[2:3], s[6:7], s8, v14, v[4:5]
	s_mul_i32 s6, s9, 0xffffed18
	s_sub_i32 s9, s6, s8
	v_addc_co_u32_e32 v1, vcc, 0, v13, vcc
	v_add_u32_e32 v3, s9, v3
	global_load_dwordx2 v[89:90], v95, s[12:13]
	global_load_dwordx2 v[87:88], v[0:1], off offset:1712
	global_load_dwordx2 v[4:5], v[2:3], off
	global_load_dwordx2 v[83:84], v95, s[12:13] offset:968
	v_mov_b32_e32 v12, s1
	v_add_co_u32_e32 v2, vcc, s10, v2
	v_addc_co_u32_e32 v3, vcc, v3, v12, vcc
	global_load_dwordx2 v[12:13], v[2:3], off
	global_load_dwordx2 v[81:82], v95, s[12:13] offset:3872
	v_mov_b32_e32 v15, s1
	v_add_co_u32_e32 v2, vcc, s10, v2
	v_addc_co_u32_e32 v3, vcc, v3, v15, vcc
	v_mad_u64_u32 v[14:15], s[6:7], s8, v14, v[2:3]
	global_load_dwordx2 v[16:17], v[2:3], off
	global_load_dwordx2 v[79:80], v[0:1], off offset:2680
	v_mov_b32_e32 v18, s1
	v_add_u32_e32 v15, s9, v15
	global_load_dwordx2 v[2:3], v[14:15], off
	global_load_dwordx2 v[74:75], v95, s[12:13] offset:1936
	v_add_co_u32_e32 v14, vcc, s10, v14
	v_addc_co_u32_e32 v15, vcc, v15, v18, vcc
	global_load_dwordx2 v[18:19], v[14:15], off
	global_load_dwordx2 v[72:73], v[0:1], off offset:3648
	global_load_dwordx2 v[77:78], v[0:1], off offset:744
	v_mov_b32_e32 v1, s1
	v_add_co_u32_e32 v0, vcc, s10, v14
	v_addc_co_u32_e32 v1, vcc, v15, v1, vcc
	global_load_dwordx2 v[0:1], v[0:1], off
	s_load_dwordx2 s[6:7], s[4:5], 0x38
	s_load_dwordx4 s[8:11], s[2:3], 0x0
	v_add_co_u32_e32 v42, vcc, s0, v96
	s_movk_i32 s0, 0xf2
	v_add_co_u32_e32 v43, vcc, s0, v96
	s_movk_i32 s0, 0x63
	v_cmp_gt_u16_e64 s[0:1], s0, v96
	s_waitcnt vmcnt(13)
	v_mul_f32_e32 v14, v7, v90
	v_mul_f32_e32 v15, v6, v90
	v_fmac_f32_e32 v14, v6, v89
	v_fma_f32 v15, v7, v89, -v15
	v_mul_f32_e32 v6, v9, v86
	v_mul_f32_e32 v7, v8, v86
	v_fmac_f32_e32 v6, v8, v85
	v_fma_f32 v7, v9, v85, -v7
	ds_write_b64 v95, v[6:7] offset:2904
	s_waitcnt vmcnt(12)
	v_mul_f32_e32 v6, v11, v88
	v_mul_f32_e32 v7, v10, v88
	v_fmac_f32_e32 v6, v10, v87
	v_fma_f32 v7, v11, v87, -v7
	ds_write_b64 v95, v[6:7] offset:5808
	s_waitcnt vmcnt(10)
	v_mul_f32_e32 v6, v5, v84
	v_fmac_f32_e32 v6, v4, v83
	v_mul_f32_e32 v4, v4, v84
	v_fma_f32 v7, v5, v83, -v4
	s_waitcnt vmcnt(8)
	v_mul_f32_e32 v4, v13, v82
	s_waitcnt vmcnt(4)
	v_mul_f32_e32 v8, v3, v75
	v_fmac_f32_e32 v8, v2, v74
	v_mul_f32_e32 v2, v2, v75
	v_mul_f32_e32 v5, v12, v82
	v_fma_f32 v9, v3, v74, -v2
	s_waitcnt vmcnt(1)
	v_mul_f32_e32 v2, v19, v78
	v_mul_f32_e32 v3, v18, v78
	ds_write2_b64 v95, v[14:15], v[6:7] offset1:121
	v_fmac_f32_e32 v4, v12, v81
	v_fma_f32 v5, v13, v81, -v5
	ds_write_b64 v95, v[8:9] offset:1936
	v_fmac_f32_e32 v2, v18, v77
	v_fma_f32 v3, v19, v77, -v3
	v_add_u32_e32 v8, 0xc00, v95
	ds_write2_b64 v8, v[4:5], v[2:3] offset0:100 offset1:221
	s_waitcnt vmcnt(0)
	v_mul_f32_e32 v2, v1, v73
	v_mul_f32_e32 v6, v17, v80
	;; [unrolled: 1-line block ×3, first 2 shown]
	v_fmac_f32_e32 v2, v0, v72
	v_mul_f32_e32 v0, v0, v73
	v_fmac_f32_e32 v6, v16, v79
	v_fma_f32 v7, v17, v79, -v7
	v_fma_f32 v3, v1, v72, -v0
	v_add_u32_e32 v0, 0x1800, v95
	v_add_u32_e32 v1, 0x400, v95
	ds_write2_b64 v0, v[6:7], v[2:3] offset0:79 offset1:200
	s_waitcnt lgkmcnt(0)
	s_barrier
	ds_read2_b64 v[24:27], v95 offset1:121
	ds_read2_b64 v[28:31], v1 offset0:114 offset1:235
	v_add_u32_e32 v2, 0x1400, v95
	ds_read2_b64 v[2:5], v2 offset0:86 offset1:207
	ds_read2_b64 v[6:9], v8 offset0:100 offset1:221
	ds_read_b64 v[10:11], v95 offset:7744
	s_waitcnt lgkmcnt(0)
	v_add_f32_e32 v12, v24, v30
	s_barrier
	v_add_f32_e32 v20, v12, v2
	v_add_f32_e32 v12, v30, v2
	v_fma_f32 v32, -0.5, v12, v24
	v_sub_f32_e32 v12, v31, v3
	v_mov_b32_e32 v22, v32
	v_fmac_f32_e32 v22, 0x3f5db3d7, v12
	v_fmac_f32_e32 v32, 0xbf5db3d7, v12
	v_add_f32_e32 v12, v25, v31
	v_add_f32_e32 v21, v12, v3
	v_add_f32_e32 v3, v31, v3
	v_fma_f32 v33, -0.5, v3, v25
	v_sub_f32_e32 v2, v30, v2
	v_mov_b32_e32 v23, v33
	v_fmac_f32_e32 v23, 0xbf5db3d7, v2
	v_fmac_f32_e32 v33, 0x3f5db3d7, v2
	v_add_f32_e32 v2, v26, v6
	;; [unrolled: 8-line block ×3, first 2 shown]
	v_add_f32_e32 v35, v2, v5
	v_add_f32_e32 v2, v7, v5
	v_fmac_f32_e32 v27, -0.5, v2
	v_sub_f32_e32 v2, v6, v4
	v_mov_b32_e32 v25, v27
	v_fmac_f32_e32 v25, 0xbf5db3d7, v2
	v_fmac_f32_e32 v27, 0x3f5db3d7, v2
	v_add_f32_e32 v2, v28, v8
	v_add_f32_e32 v36, v2, v10
	;; [unrolled: 1-line block ×3, first 2 shown]
	v_fma_f32 v28, -0.5, v2, v28
	v_sub_f32_e32 v2, v9, v11
	v_mov_b32_e32 v38, v28
	v_fmac_f32_e32 v38, 0x3f5db3d7, v2
	v_fmac_f32_e32 v28, 0xbf5db3d7, v2
	v_add_f32_e32 v2, v29, v9
	v_add_f32_e32 v37, v2, v11
	;; [unrolled: 1-line block ×3, first 2 shown]
	v_fmac_f32_e32 v29, -0.5, v2
	v_sub_f32_e32 v2, v8, v10
	v_mov_b32_e32 v39, v29
	v_fmac_f32_e32 v39, 0xbf5db3d7, v2
	v_fmac_f32_e32 v29, 0x3f5db3d7, v2
	v_mul_lo_u16_e32 v2, 3, v96
	v_lshlrev_b32_e32 v99, 3, v2
	v_mul_u32_u24_e32 v2, 3, v42
	v_lshlrev_b32_e32 v100, 3, v2
	v_mul_u32_u24_e32 v2, 3, v43
	v_lshlrev_b32_e32 v101, 3, v2
	ds_write2_b64 v99, v[20:21], v[22:23] offset1:1
	ds_write_b64 v99, v[32:33] offset:16
	ds_write2_b64 v100, v[34:35], v[24:25] offset1:1
	ds_write_b64 v100, v[26:27] offset:16
	;; [unrolled: 2-line block ×3, first 2 shown]
	s_waitcnt lgkmcnt(0)
	s_barrier
	s_and_saveexec_b64 s[2:3], s[0:1]
	s_cbranch_execz .LBB0_3
; %bb.2:
	ds_read2_b64 v[20:23], v95 offset1:99
	ds_read2_b64 v[32:35], v1 offset0:70 offset1:169
	v_add_u32_e32 v1, 0x800, v95
	ds_read2_b64 v[24:27], v1 offset0:140 offset1:239
	v_add_u32_e32 v1, 0x1000, v95
	ds_read2_b64 v[36:39], v1 offset0:82 offset1:181
	ds_read2_b64 v[28:31], v0 offset0:24 offset1:123
	ds_read_b64 v[40:41], v95 offset:7920
.LBB0_3:
	s_or_b64 exec, exec, s[2:3]
	s_movk_i32 s2, 0xab
	v_mul_lo_u16_sdwa v0, v96, s2 dst_sel:DWORD dst_unused:UNUSED_PAD src0_sel:BYTE_0 src1_sel:DWORD
	v_lshrrev_b16_e32 v98, 9, v0
	v_mul_lo_u16_e32 v0, 3, v98
	v_sub_u16_e32 v0, v96, v0
	v_and_b32_e32 v97, 0xff, v0
	v_mul_u32_u24_e32 v0, 10, v97
	v_lshlrev_b32_e32 v44, 3, v0
	global_load_dwordx4 v[12:15], v44, s[14:15]
	global_load_dwordx4 v[8:11], v44, s[14:15] offset:16
	global_load_dwordx4 v[4:7], v44, s[14:15] offset:32
	;; [unrolled: 1-line block ×4, first 2 shown]
	s_mov_b32 s4, 0x3f575c64
	s_mov_b32 s5, 0x3ed4b147
	;; [unrolled: 1-line block ×5, first 2 shown]
	v_mul_u32_u24_e32 v98, 33, v98
	s_waitcnt vmcnt(0) lgkmcnt(0)
	s_barrier
	v_mul_f32_e32 v55, v23, v13
	v_mul_f32_e32 v44, v22, v13
	;; [unrolled: 1-line block ×11, first 2 shown]
	v_fma_f32 v55, v22, v12, -v55
	v_fmac_f32_e32 v44, v23, v12
	v_fmac_f32_e32 v53, v31, v16
	v_fma_f32 v31, v40, v18, -v63
	v_fmac_f32_e32 v54, v41, v18
	v_mul_f32_e32 v56, v35, v9
	v_mul_f32_e32 v58, v27, v5
	;; [unrolled: 1-line block ×5, first 2 shown]
	v_fma_f32 v52, v32, v14, -v52
	v_fmac_f32_e32 v45, v33, v14
	v_fmac_f32_e32 v46, v35, v8
	v_fma_f32 v35, v36, v6, -v59
	v_fma_f32 v36, v38, v0, -v60
	;; [unrolled: 1-line block ×3, first 2 shown]
	v_sub_f32_e32 v69, v55, v31
	v_sub_f32_e32 v63, v44, v54
	v_mul_f32_e32 v47, v24, v11
	v_mul_f32_e32 v48, v26, v5
	;; [unrolled: 1-line block ×3, first 2 shown]
	v_fma_f32 v32, v26, v4, -v58
	v_fmac_f32_e32 v51, v29, v2
	v_add_f32_e32 v26, v44, v54
	v_sub_f32_e32 v70, v52, v38
	v_sub_f32_e32 v64, v45, v53
	v_mul_f32_e32 v40, 0xbf0a6770, v63
	v_mul_f32_e32 v60, 0xbf0a6770, v69
	;; [unrolled: 1-line block ×3, first 2 shown]
	v_fmac_f32_e32 v48, v27, v4
	v_fma_f32 v33, v34, v8, -v56
	v_fmac_f32_e32 v47, v25, v10
	v_fmac_f32_e32 v49, v37, v6
	;; [unrolled: 1-line block ×3, first 2 shown]
	v_fma_f32 v37, v28, v2, -v61
	v_add_f32_e32 v22, v55, v31
	v_add_f32_e32 v27, v45, v53
	v_sub_f32_e32 v66, v46, v51
	v_mul_f32_e32 v58, 0xbf68dda4, v70
	v_mul_f32_e32 v56, 0xbf68dda4, v64
	v_fma_f32 v30, v26, s4, -v60
	v_mov_b32_e32 v61, v40
	v_fma_f32 v34, v24, v10, -v57
	v_add_f32_e32 v23, v52, v38
	v_sub_f32_e32 v68, v33, v37
	v_sub_f32_e32 v65, v47, v50
	v_mul_f32_e32 v57, 0xbf7d64f0, v66
	v_fma_f32 v39, v27, s5, -v58
	v_mov_b32_e32 v62, v56
	v_add_f32_e32 v30, v21, v30
	v_fmac_f32_e32 v61, 0x3f575c64, v22
	v_add_f32_e32 v28, v46, v51
	v_add_f32_e32 v25, v33, v37
	v_sub_f32_e32 v71, v34, v36
	v_mul_f32_e32 v59, 0xbf7d64f0, v68
	v_mul_f32_e32 v41, 0xbf4178ce, v65
	v_mov_b32_e32 v91, v57
	v_fmac_f32_e32 v62, 0x3ed4b147, v23
	v_add_f32_e32 v30, v39, v30
	v_add_f32_e32 v39, v20, v61
	;; [unrolled: 1-line block ×4, first 2 shown]
	v_fma_f32 v67, v28, s16, -v59
	v_mov_b32_e32 v92, v41
	v_fmac_f32_e32 v91, 0xbe11bafb, v25
	v_add_f32_e32 v39, v62, v39
	v_mul_f32_e32 v61, 0xbf4178ce, v71
	v_fmac_f32_e32 v92, 0xbf27a4f4, v24
	v_add_f32_e32 v30, v67, v30
	v_add_f32_e32 v39, v91, v39
	v_fma_f32 v62, v29, s17, -v61
	v_sub_f32_e32 v104, v48, v49
	v_add_f32_e32 v39, v92, v39
	v_add_f32_e32 v92, v62, v30
	v_mul_f32_e32 v62, 0xbe903f40, v104
	v_add_f32_e32 v30, v32, v35
	v_mov_b32_e32 v67, v62
	v_fmac_f32_e32 v67, 0xbf75a155, v30
	v_sub_f32_e32 v111, v32, v35
	v_add_f32_e32 v91, v67, v39
	v_add_f32_e32 v39, v48, v49
	v_mul_f32_e32 v67, 0xbe903f40, v111
	v_fma_f32 v93, v39, s18, -v67
	v_mul_f32_e32 v102, 0xbf68dda4, v63
	v_add_f32_e32 v92, v93, v92
	v_mov_b32_e32 v93, v102
	v_mul_f32_e32 v103, 0xbf4178ce, v64
	v_fmac_f32_e32 v93, 0x3ed4b147, v22
	v_mov_b32_e32 v94, v103
	v_add_f32_e32 v93, v20, v93
	v_fmac_f32_e32 v94, 0xbf27a4f4, v23
	v_mul_f32_e32 v107, 0xbf68dda4, v69
	v_add_f32_e32 v93, v94, v93
	v_fma_f32 v94, v26, s5, -v107
	v_mul_f32_e32 v108, 0xbf4178ce, v70
	v_add_f32_e32 v94, v21, v94
	v_fma_f32 v105, v27, s17, -v108
	v_add_f32_e32 v94, v105, v94
	v_mul_f32_e32 v105, 0x3e903f40, v66
	v_mov_b32_e32 v106, v105
	v_fmac_f32_e32 v106, 0xbf75a155, v25
	v_mul_f32_e32 v110, 0x3e903f40, v68
	v_add_f32_e32 v93, v106, v93
	v_fma_f32 v106, v28, s18, -v110
	v_add_f32_e32 v94, v106, v94
	v_mul_f32_e32 v106, 0x3f7d64f0, v65
	v_mov_b32_e32 v109, v106
	v_fmac_f32_e32 v109, 0xbe11bafb, v24
	;; [unrolled: 7-line block ×3, first 2 shown]
	v_add_f32_e32 v93, v113, v93
	v_mul_f32_e32 v113, 0x3f0a6770, v111
	v_fma_f32 v114, v39, s4, -v113
	v_add_f32_e32 v94, v114, v94
	s_and_saveexec_b64 s[2:3], s[0:1]
	s_cbranch_execz .LBB0_5
; %bb.4:
	v_mul_f32_e32 v137, 0xbe903f40, v69
	v_mov_b32_e32 v114, v137
	v_mul_f32_e32 v138, 0x3f0a6770, v70
	v_fmac_f32_e32 v114, 0xbf75a155, v26
	v_mov_b32_e32 v115, v138
	v_add_f32_e32 v114, v21, v114
	v_fmac_f32_e32 v115, 0x3f575c64, v27
	v_mul_f32_e32 v139, 0xbf4178ce, v68
	v_add_f32_e32 v114, v115, v114
	v_mov_b32_e32 v115, v139
	v_fmac_f32_e32 v115, 0xbf27a4f4, v28
	v_mul_f32_e32 v140, 0x3f68dda4, v71
	v_add_f32_e32 v114, v115, v114
	v_mov_b32_e32 v115, v140
	;; [unrolled: 4-line block ×3, first 2 shown]
	v_fmac_f32_e32 v115, 0xbe11bafb, v39
	v_mul_f32_e32 v142, 0xbe903f40, v63
	v_add_f32_e32 v115, v115, v114
	v_fma_f32 v114, v22, s18, -v142
	v_mul_f32_e32 v143, 0x3f0a6770, v64
	v_add_f32_e32 v114, v20, v114
	v_fma_f32 v116, v23, s4, -v143
	;; [unrolled: 3-line block ×5, first 2 shown]
	v_mul_f32_e32 v147, 0xbf4178ce, v69
	v_add_f32_e32 v114, v116, v114
	v_mov_b32_e32 v116, v147
	v_mul_f32_e32 v148, 0x3f7d64f0, v70
	v_fmac_f32_e32 v116, 0xbf27a4f4, v26
	v_mov_b32_e32 v117, v148
	v_add_f32_e32 v116, v21, v116
	v_fmac_f32_e32 v117, 0xbe11bafb, v27
	v_mul_f32_e32 v149, 0xbf0a6770, v68
	v_add_f32_e32 v116, v117, v116
	v_mov_b32_e32 v117, v149
	v_fmac_f32_e32 v117, 0x3f575c64, v28
	v_mul_f32_e32 v150, 0xbe903f40, v71
	v_mul_f32_e32 v118, 0x3f575c64, v22
	v_add_f32_e32 v116, v117, v116
	v_mov_b32_e32 v117, v150
	v_mul_f32_e32 v122, 0x3ed4b147, v23
	v_fmac_f32_e32 v117, 0xbf75a155, v29
	v_mul_f32_e32 v151, 0x3f68dda4, v111
	v_sub_f32_e32 v40, v118, v40
	v_mul_f32_e32 v126, 0xbe11bafb, v25
	v_add_f32_e32 v116, v117, v116
	v_mov_b32_e32 v117, v151
	v_add_f32_e32 v40, v20, v40
	v_sub_f32_e32 v56, v122, v56
	v_mul_f32_e32 v130, 0xbf27a4f4, v24
	v_fmac_f32_e32 v117, 0x3ed4b147, v39
	v_mul_f32_e32 v152, 0xbf4178ce, v63
	v_add_f32_e32 v40, v56, v40
	v_sub_f32_e32 v56, v126, v57
	v_mul_f32_e32 v134, 0xbf75a155, v30
	v_add_f32_e32 v117, v117, v116
	v_fma_f32 v116, v22, s17, -v152
	v_mul_f32_e32 v153, 0x3f7d64f0, v64
	v_add_f32_e32 v40, v56, v40
	v_sub_f32_e32 v41, v130, v41
	v_add_f32_e32 v116, v20, v116
	v_fma_f32 v154, v23, s16, -v153
	v_add_f32_e32 v40, v41, v40
	v_sub_f32_e32 v41, v134, v62
	v_add_f32_e32 v116, v154, v116
	v_mul_f32_e32 v154, 0xbf0a6770, v66
	v_add_f32_e32 v57, v41, v40
	v_add_f32_e32 v40, v21, v44
	v_fma_f32 v155, v25, s4, -v154
	v_add_f32_e32 v40, v40, v45
	v_add_f32_e32 v116, v155, v116
	v_mul_f32_e32 v155, 0xbe903f40, v65
	v_add_f32_e32 v40, v40, v46
	v_fma_f32 v156, v24, s18, -v155
	v_add_f32_e32 v40, v40, v47
	v_add_f32_e32 v116, v156, v116
	v_mul_f32_e32 v156, 0x3f68dda4, v104
	;; [unrolled: 5-line block ×3, first 2 shown]
	v_add_f32_e32 v40, v40, v50
	v_mov_b32_e32 v69, v157
	v_mul_f32_e32 v70, 0x3e903f40, v70
	v_add_f32_e32 v40, v40, v51
	v_fmac_f32_e32 v69, 0xbe11bafb, v26
	v_mov_b32_e32 v158, v70
	v_add_f32_e32 v40, v40, v53
	v_add_f32_e32 v69, v21, v69
	v_fmac_f32_e32 v158, 0xbf75a155, v27
	v_add_f32_e32 v41, v40, v54
	v_add_f32_e32 v40, v20, v55
	;; [unrolled: 1-line block ×3, first 2 shown]
	v_mul_f32_e32 v158, 0x3f68dda4, v68
	v_add_f32_e32 v40, v40, v52
	v_mov_b32_e32 v68, v158
	v_mul_f32_e32 v159, 0xbf7d64f0, v63
	v_add_f32_e32 v33, v40, v33
	v_fmac_f32_e32 v68, 0x3ed4b147, v28
	v_mul_f32_e32 v71, 0xbf0a6770, v71
	v_fma_f32 v63, v22, s16, -v159
	v_mul_f32_e32 v160, 0x3e903f40, v64
	v_add_f32_e32 v33, v33, v34
	v_add_f32_e32 v68, v68, v69
	v_mov_b32_e32 v69, v71
	v_add_f32_e32 v63, v20, v63
	v_fma_f32 v64, v23, s18, -v160
	v_mul_f32_e32 v66, 0x3f68dda4, v66
	v_add_f32_e32 v32, v33, v32
	v_fmac_f32_e32 v69, 0x3f575c64, v29
	v_mul_f32_e32 v111, 0xbf4178ce, v111
	v_add_f32_e32 v63, v64, v63
	v_fma_f32 v64, v25, s5, -v66
	v_mul_f32_e32 v65, 0xbf0a6770, v65
	v_add_f32_e32 v32, v32, v35
	v_add_f32_e32 v68, v69, v68
	v_mov_b32_e32 v69, v111
	v_add_f32_e32 v63, v64, v63
	v_fma_f32 v64, v24, s4, -v65
	v_mul_f32_e32 v104, 0xbf4178ce, v104
	v_add_f32_e32 v32, v32, v36
	v_mul_f32_e32 v121, 0x3ed4b147, v26
	v_fmac_f32_e32 v69, 0xbf27a4f4, v39
	v_add_f32_e32 v63, v64, v63
	v_fma_f32 v64, v30, s17, -v104
	v_add_f32_e32 v32, v32, v37
	v_mul_f32_e32 v125, 0xbf27a4f4, v27
	v_add_f32_e32 v69, v69, v68
	v_add_f32_e32 v68, v64, v63
	;; [unrolled: 1-line block ×4, first 2 shown]
	v_mul_f32_e32 v129, 0xbf75a155, v28
	v_add_f32_e32 v64, v21, v64
	v_add_f32_e32 v107, v108, v125
	;; [unrolled: 1-line block ×3, first 2 shown]
	v_fma_f32 v31, v26, s18, -v137
	v_fma_f32 v33, v26, s17, -v147
	v_mul_f32_e32 v133, 0xbe11bafb, v29
	v_add_f32_e32 v64, v107, v64
	v_add_f32_e32 v107, v110, v129
	;; [unrolled: 1-line block ×3, first 2 shown]
	v_fma_f32 v32, v27, s4, -v138
	v_add_f32_e32 v33, v21, v33
	v_fma_f32 v34, v27, s16, -v148
	v_mul_f32_e32 v119, 0x3f575c64, v26
	v_mul_f32_e32 v63, 0x3f575c64, v39
	v_add_f32_e32 v64, v107, v64
	v_add_f32_e32 v107, v112, v133
	;; [unrolled: 1-line block ×3, first 2 shown]
	v_fma_f32 v32, v28, s17, -v139
	v_add_f32_e32 v33, v34, v33
	v_fma_f32 v34, v28, s4, -v149
	v_mul_f32_e32 v120, 0x3ed4b147, v22
	v_mul_f32_e32 v123, 0x3ed4b147, v27
	v_add_f32_e32 v64, v107, v64
	v_add_f32_e32 v63, v113, v63
	;; [unrolled: 1-line block ×4, first 2 shown]
	v_fma_f32 v32, v29, s5, -v140
	v_add_f32_e32 v33, v34, v33
	v_fma_f32 v34, v29, s18, -v150
	v_mul_f32_e32 v124, 0xbf27a4f4, v23
	v_mul_f32_e32 v127, 0xbe11bafb, v28
	v_add_f32_e32 v64, v63, v64
	v_sub_f32_e32 v63, v120, v102
	v_add_f32_e32 v60, v21, v60
	v_add_f32_e32 v58, v58, v123
	;; [unrolled: 1-line block ×3, first 2 shown]
	v_fma_f32 v32, v39, s16, -v141
	v_fmac_f32_e32 v142, 0xbf75a155, v22
	v_add_f32_e32 v33, v34, v33
	v_fma_f32 v34, v39, s5, -v151
	v_fmac_f32_e32 v152, 0xbf27a4f4, v22
	v_fma_f32 v26, v26, s16, -v157
	v_fmac_f32_e32 v159, 0xbe11bafb, v22
	v_mul_f32_e32 v128, 0xbf75a155, v25
	v_mul_f32_e32 v131, 0xbf27a4f4, v29
	v_add_f32_e32 v63, v20, v63
	v_sub_f32_e32 v102, v124, v103
	v_add_f32_e32 v58, v58, v60
	v_add_f32_e32 v59, v59, v127
	v_add_f32_e32 v32, v32, v31
	v_add_f32_e32 v31, v20, v142
	v_fmac_f32_e32 v143, 0x3f575c64, v23
	v_add_f32_e32 v34, v34, v33
	v_add_f32_e32 v33, v20, v152
	v_fmac_f32_e32 v153, 0xbe11bafb, v23
	v_add_f32_e32 v21, v21, v26
	v_fma_f32 v26, v27, s18, -v70
	v_add_f32_e32 v20, v20, v159
	v_fmac_f32_e32 v160, 0xbf75a155, v23
	v_mul_f32_e32 v132, 0xbe11bafb, v24
	v_mul_f32_e32 v135, 0xbf75a155, v39
	v_add_f32_e32 v63, v102, v63
	v_sub_f32_e32 v102, v128, v105
	v_add_f32_e32 v58, v59, v58
	v_add_f32_e32 v59, v61, v131
	;; [unrolled: 1-line block ×3, first 2 shown]
	v_fmac_f32_e32 v144, 0xbf27a4f4, v25
	v_add_f32_e32 v33, v153, v33
	v_fmac_f32_e32 v154, 0x3f575c64, v25
	v_add_f32_e32 v21, v26, v21
	v_fma_f32 v26, v28, s5, -v158
	v_add_f32_e32 v20, v160, v20
	v_fmac_f32_e32 v66, 0x3ed4b147, v25
	v_mul_f32_e32 v136, 0x3f575c64, v30
	v_add_f32_e32 v63, v102, v63
	v_sub_f32_e32 v102, v132, v106
	v_add_f32_e32 v58, v59, v58
	v_add_f32_e32 v59, v67, v135
	;; [unrolled: 1-line block ×3, first 2 shown]
	v_fmac_f32_e32 v145, 0x3ed4b147, v24
	v_add_f32_e32 v33, v154, v33
	v_fmac_f32_e32 v155, 0xbf75a155, v24
	v_add_f32_e32 v21, v26, v21
	v_fma_f32 v26, v29, s4, -v71
	v_add_f32_e32 v20, v66, v20
	v_fmac_f32_e32 v65, 0x3f575c64, v24
	v_add_f32_e32 v63, v102, v63
	v_sub_f32_e32 v102, v136, v109
	v_add_f32_e32 v58, v59, v58
	v_add_f32_e32 v31, v145, v31
	v_fmac_f32_e32 v146, 0xbe11bafb, v30
	v_add_f32_e32 v33, v155, v33
	v_fmac_f32_e32 v156, 0x3ed4b147, v30
	v_add_f32_e32 v21, v26, v21
	v_fma_f32 v26, v39, s17, -v111
	v_add_f32_e32 v20, v65, v20
	v_fmac_f32_e32 v104, 0xbf27a4f4, v30
	v_add_lshl_u32 v22, v98, v97, 3
	v_add_f32_e32 v63, v102, v63
	v_add_f32_e32 v31, v146, v31
	;; [unrolled: 1-line block ×5, first 2 shown]
	ds_write2_b64 v22, v[40:41], v[57:58] offset1:3
	ds_write2_b64 v22, v[63:64], v[68:69] offset0:6 offset1:9
	ds_write2_b64 v22, v[116:117], v[114:115] offset0:12 offset1:15
	;; [unrolled: 1-line block ×4, first 2 shown]
	ds_write_b64 v22, v[91:92] offset:240
.LBB0_5:
	s_or_b64 exec, exec, s[2:3]
	s_movk_i32 s2, 0xf9
	v_mul_lo_u16_sdwa v20, v96, s2 dst_sel:DWORD dst_unused:UNUSED_PAD src0_sel:BYTE_0 src1_sel:DWORD
	v_lshrrev_b16_e32 v27, 13, v20
	v_mul_lo_u16_e32 v20, 33, v27
	v_sub_u16_e32 v20, v96, v20
	v_and_b32_e32 v44, 0xff, v20
	v_mul_lo_u16_sdwa v20, v42, s2 dst_sel:DWORD dst_unused:UNUSED_PAD src0_sel:BYTE_0 src1_sel:DWORD
	v_lshrrev_b16_e32 v45, 13, v20
	v_mul_lo_u16_e32 v20, 33, v45
	v_sub_u16_e32 v20, v42, v20
	v_lshlrev_b32_e32 v24, 4, v44
	v_and_b32_e32 v46, 0xff, v20
	s_mov_b32 s2, 0xf83f
	s_waitcnt lgkmcnt(0)
	s_barrier
	v_lshlrev_b32_e32 v25, 4, v46
	global_load_dwordx4 v[28:31], v24, s[14:15] offset:240
	global_load_dwordx4 v[20:23], v25, s[14:15] offset:240
	v_mul_u32_u24_sdwa v24, v43, s2 dst_sel:DWORD dst_unused:UNUSED_PAD src0_sel:WORD_0 src1_sel:DWORD
	v_lshrrev_b32_e32 v47, 21, v24
	v_mul_lo_u16_e32 v24, 33, v47
	v_sub_u16_e32 v48, v43, v24
	v_lshlrev_b16_e32 v24, 4, v48
	v_mov_b32_e32 v25, s15
	v_add_co_u32_e32 v24, vcc, s14, v24
	v_addc_co_u32_e32 v25, vcc, 0, v25, vcc
	global_load_dwordx4 v[32:35], v[24:25], off offset:240
	v_add_u32_e32 v24, 0x400, v95
	v_add_u32_e32 v25, 0x1400, v95
	ds_read2_b64 v[60:63], v24 offset0:114 offset1:235
	v_add_u32_e32 v40, 0xc00, v95
	ds_read2_b64 v[56:59], v95 offset1:121
	ds_read2_b64 v[36:39], v25 offset0:86 offset1:207
	ds_read_b64 v[25:26], v95 offset:7744
	ds_read2_b64 v[40:43], v40 offset0:100 offset1:221
	s_movk_i32 s2, 0x63
	s_waitcnt vmcnt(0) lgkmcnt(0)
	s_barrier
	v_mul_f32_e32 v49, v63, v29
	v_mul_f32_e32 v51, v37, v31
	;; [unrolled: 1-line block ×3, first 2 shown]
	v_fma_f32 v49, v62, v28, -v49
	v_mul_f32_e32 v53, v36, v31
	v_mul_f32_e32 v52, v41, v21
	;; [unrolled: 1-line block ×3, first 2 shown]
	v_fma_f32 v36, v36, v30, -v51
	v_fmac_f32_e32 v67, v39, v22
	v_fmac_f32_e32 v53, v37, v30
	v_fma_f32 v37, v40, v20, -v52
	v_mul_f32_e32 v50, v62, v29
	v_mul_f32_e32 v64, v43, v33
	;; [unrolled: 1-line block ×4, first 2 shown]
	v_fma_f32 v39, v42, v32, -v64
	v_fmac_f32_e32 v102, v26, v34
	v_add_f32_e32 v26, v56, v49
	v_fma_f32 v25, v25, v34, -v65
	v_add_f32_e32 v52, v26, v36
	v_add_f32_e32 v26, v60, v39
	v_mul_f32_e32 v71, v42, v33
	v_add_f32_e32 v68, v26, v25
	v_add_f32_e32 v26, v39, v25
	v_fmac_f32_e32 v71, v43, v32
	v_fma_f32 v60, -0.5, v26, v60
	v_sub_f32_e32 v26, v71, v102
	v_mov_b32_e32 v70, v60
	v_fmac_f32_e32 v70, 0x3f5db3d7, v26
	v_fmac_f32_e32 v60, 0xbf5db3d7, v26
	v_add_f32_e32 v26, v61, v71
	v_add_f32_e32 v69, v26, v102
	;; [unrolled: 1-line block ×3, first 2 shown]
	v_mul_f32_e32 v54, v40, v21
	v_fmac_f32_e32 v61, -0.5, v26
	v_fmac_f32_e32 v50, v63, v28
	v_fmac_f32_e32 v54, v41, v20
	v_fma_f32 v38, v38, v22, -v55
	v_sub_f32_e32 v25, v39, v25
	v_mov_b32_e32 v71, v61
	v_add_f32_e32 v40, v49, v36
	v_add_f32_e32 v43, v50, v53
	;; [unrolled: 1-line block ×3, first 2 shown]
	v_sub_f32_e32 v62, v54, v67
	v_add_f32_e32 v55, v59, v54
	v_add_f32_e32 v54, v54, v67
	v_fmac_f32_e32 v71, 0xbf5db3d7, v25
	v_fmac_f32_e32 v61, 0x3f5db3d7, v25
	v_mul_u32_u24_e32 v25, 0x63, v27
	v_sub_f32_e32 v41, v50, v53
	v_add_f32_e32 v42, v57, v50
	v_add_f32_e32 v50, v58, v37
	v_fma_f32 v64, -0.5, v40, v56
	v_fma_f32 v65, -0.5, v43, v57
	;; [unrolled: 1-line block ×3, first 2 shown]
	v_fmac_f32_e32 v59, -0.5, v54
	v_add_lshl_u32 v102, v25, v44, 3
	v_mul_u32_u24_e32 v25, 0x63, v45
	v_sub_f32_e32 v49, v49, v36
	v_sub_f32_e32 v37, v37, v38
	v_add_f32_e32 v67, v55, v67
	v_mov_b32_e32 v54, v64
	v_mov_b32_e32 v55, v65
	;; [unrolled: 1-line block ×4, first 2 shown]
	v_add_lshl_u32 v103, v25, v46, 3
	v_mad_legacy_u16 v25, v47, s2, v48
	v_add_f32_e32 v53, v42, v53
	v_add_f32_e32 v66, v50, v38
	v_fmac_f32_e32 v64, 0xbf5db3d7, v41
	v_fmac_f32_e32 v65, 0x3f5db3d7, v49
	;; [unrolled: 1-line block ×8, first 2 shown]
	v_lshlrev_b32_e32 v104, 3, v25
	ds_write2_b64 v102, v[52:53], v[54:55] offset1:33
	ds_write_b64 v102, v[64:65] offset:528
	ds_write2_b64 v103, v[66:67], v[56:57] offset1:33
	ds_write_b64 v103, v[58:59] offset:528
	;; [unrolled: 2-line block ×3, first 2 shown]
	s_waitcnt lgkmcnt(0)
	s_barrier
	s_and_saveexec_b64 s[2:3], s[0:1]
	s_cbranch_execz .LBB0_7
; %bb.6:
	ds_read2_b64 v[52:55], v95 offset1:99
	ds_read2_b64 v[64:67], v24 offset0:70 offset1:169
	v_add_u32_e32 v24, 0x800, v95
	ds_read2_b64 v[56:59], v24 offset0:140 offset1:239
	v_add_u32_e32 v25, 0x1800, v95
	v_add_u32_e32 v24, 0x1000, v95
	ds_read2_b64 v[60:63], v25 offset0:24 offset1:123
	ds_read2_b64 v[68:71], v24 offset0:82 offset1:181
	ds_read_b64 v[91:92], v95 offset:7920
	s_waitcnt lgkmcnt(2)
	v_mov_b32_e32 v93, v62
	v_mov_b32_e32 v94, v63
.LBB0_7:
	s_or_b64 exec, exec, s[2:3]
	v_add_u32_e32 v24, 0xffffff9d, v96
	v_cndmask_b32_e64 v24, v24, v96, s[0:1]
	v_mul_hi_i32_i24_e32 v25, 0x50, v24
	v_mul_i32_i24_e32 v24, 0x50, v24
	v_mov_b32_e32 v26, s15
	v_add_co_u32_e32 v62, vcc, s14, v24
	v_addc_co_u32_e32 v63, vcc, v26, v25, vcc
	global_load_dwordx4 v[44:47], v[62:63], off offset:768
	global_load_dwordx4 v[40:43], v[62:63], off offset:784
	;; [unrolled: 1-line block ×5, first 2 shown]
	s_mov_b32 s15, 0xbe11bafb
	s_mov_b32 s14, 0xbf27a4f4
	;; [unrolled: 1-line block ×3, first 2 shown]
	s_waitcnt vmcnt(4)
	v_mul_f32_e32 v62, v54, v45
	v_mul_f32_e32 v63, v64, v47
	v_fmac_f32_e32 v62, v55, v44
	v_mul_f32_e32 v112, v55, v45
	s_waitcnt vmcnt(0) lgkmcnt(0)
	v_mul_f32_e32 v113, v91, v51
	v_mul_f32_e32 v111, v93, v49
	v_fmac_f32_e32 v113, v92, v50
	v_mul_f32_e32 v105, v66, v41
	v_mul_f32_e32 v117, v59, v25
	;; [unrolled: 1-line block ×6, first 2 shown]
	v_fmac_f32_e32 v63, v65, v46
	v_fmac_f32_e32 v111, v94, v48
	v_sub_f32_e32 v126, v62, v113
	v_mul_f32_e32 v114, v65, v47
	v_mul_f32_e32 v115, v67, v41
	;; [unrolled: 1-line block ×6, first 2 shown]
	v_fma_f32 v112, v54, v44, -v112
	v_fmac_f32_e32 v105, v67, v40
	v_fma_f32 v67, v58, v24, -v117
	v_fmac_f32_e32 v109, v71, v36
	v_fmac_f32_e32 v110, v61, v38
	v_fma_f32 v61, v93, v48, -v121
	v_fma_f32 v71, v91, v50, -v122
	v_sub_f32_e32 v127, v63, v111
	v_mul_f32_e32 v117, 0xbf0a6770, v126
	v_mul_f32_e32 v121, 0xbf68dda4, v126
	;; [unrolled: 1-line block ×4, first 2 shown]
	v_fma_f32 v64, v64, v46, -v114
	v_fma_f32 v68, v68, v26, -v118
	v_fmac_f32_e32 v108, v69, v26
	v_fma_f32 v69, v70, v36, -v119
	v_fma_f32 v70, v60, v38, -v120
	v_add_f32_e32 v54, v112, v71
	v_sub_f32_e32 v130, v112, v71
	v_mul_f32_e32 v118, 0xbf68dda4, v127
	v_mul_f32_e32 v122, 0xbf4178ce, v127
	v_mov_b32_e32 v58, v117
	v_mov_b32_e32 v60, v121
	v_mul_f32_e32 v106, v56, v43
	v_fma_f32 v65, v66, v40, -v115
	v_fma_f32 v66, v56, v42, -v116
	v_add_f32_e32 v56, v62, v113
	v_add_f32_e32 v55, v64, v61
	v_sub_f32_e32 v131, v64, v61
	v_mul_f32_e32 v119, 0xbf0a6770, v130
	v_mov_b32_e32 v92, v118
	v_mov_b32_e32 v94, v122
	v_fmac_f32_e32 v58, 0x3f575c64, v54
	v_fmac_f32_e32 v60, 0x3ed4b147, v54
	v_sub_f32_e32 v136, v105, v110
	v_fmac_f32_e32 v106, v57, v42
	v_fmac_f32_e32 v107, v59, v24
	v_add_f32_e32 v57, v63, v111
	v_mul_f32_e32 v120, 0xbf68dda4, v131
	v_fma_f32 v59, v56, s4, -v119
	v_fmac_f32_e32 v92, 0x3ed4b147, v55
	v_fmac_f32_e32 v94, 0xbf27a4f4, v55
	v_add_f32_e32 v58, v52, v58
	v_add_f32_e32 v60, v52, v60
	v_mul_f32_e32 v123, 0xbf7d64f0, v136
	v_fma_f32 v93, v57, s5, -v120
	v_add_f32_e32 v59, v53, v59
	v_add_f32_e32 v92, v92, v58
	;; [unrolled: 1-line block ×4, first 2 shown]
	v_sub_f32_e32 v140, v65, v70
	v_mov_b32_e32 v94, v123
	v_add_f32_e32 v93, v93, v59
	v_add_f32_e32 v59, v105, v110
	v_mul_f32_e32 v128, 0xbf7d64f0, v140
	v_fmac_f32_e32 v94, 0xbe11bafb, v58
	v_mul_f32_e32 v124, 0xbf68dda4, v130
	v_add_f32_e32 v92, v94, v92
	v_fma_f32 v94, v59, s15, -v128
	v_mul_f32_e32 v132, 0x3e903f40, v136
	v_mul_f32_e32 v125, 0xbf4178ce, v131
	v_fma_f32 v91, v56, s5, -v124
	v_add_f32_e32 v93, v94, v93
	v_mov_b32_e32 v94, v132
	v_fma_f32 v114, v57, s14, -v125
	v_add_f32_e32 v91, v53, v91
	v_mul_f32_e32 v135, 0x3e903f40, v140
	v_fmac_f32_e32 v94, 0xbf75a155, v58
	v_sub_f32_e32 v141, v106, v109
	v_add_f32_e32 v91, v114, v91
	v_add_f32_e32 v94, v94, v60
	v_fma_f32 v60, v59, s16, -v135
	v_mul_f32_e32 v129, 0xbf4178ce, v141
	v_add_f32_e32 v91, v60, v91
	v_add_f32_e32 v60, v66, v69
	v_sub_f32_e32 v145, v66, v69
	v_mov_b32_e32 v115, v129
	v_add_f32_e32 v114, v106, v109
	v_mul_f32_e32 v133, 0xbf4178ce, v145
	v_fmac_f32_e32 v115, 0xbf27a4f4, v60
	v_add_f32_e32 v92, v115, v92
	v_fma_f32 v115, v114, s14, -v133
	v_mul_f32_e32 v137, 0x3f7d64f0, v141
	v_add_f32_e32 v93, v115, v93
	v_mov_b32_e32 v115, v137
	v_mul_f32_e32 v139, 0x3f7d64f0, v145
	v_fmac_f32_e32 v115, 0xbe11bafb, v60
	v_sub_f32_e32 v144, v107, v108
	v_add_f32_e32 v94, v115, v94
	v_fma_f32 v115, v114, s15, -v139
	v_mul_f32_e32 v134, 0xbe903f40, v144
	v_add_f32_e32 v147, v115, v91
	v_add_f32_e32 v115, v67, v68
	v_sub_f32_e32 v146, v67, v68
	v_mov_b32_e32 v91, v134
	v_add_f32_e32 v116, v107, v108
	v_mul_f32_e32 v138, 0xbe903f40, v146
	v_fmac_f32_e32 v91, 0xbf75a155, v115
	v_add_f32_e32 v91, v91, v92
	v_fma_f32 v92, v116, s16, -v138
	v_mul_f32_e32 v142, 0x3f0a6770, v144
	v_add_f32_e32 v92, v92, v93
	v_mov_b32_e32 v93, v142
	v_mul_f32_e32 v143, 0x3f0a6770, v146
	v_fmac_f32_e32 v93, 0x3f575c64, v115
	v_add_f32_e32 v93, v93, v94
	v_fma_f32 v94, v116, s4, -v143
	v_add_f32_e32 v94, v94, v147
	s_and_saveexec_b64 s[2:3], s[0:1]
	s_cbranch_execz .LBB0_9
; %bb.8:
	v_mul_f32_e32 v171, 0xbe903f40, v130
	v_mov_b32_e32 v147, v171
	v_mul_f32_e32 v172, 0x3f0a6770, v131
	v_fmac_f32_e32 v147, 0xbf75a155, v56
	v_mov_b32_e32 v148, v172
	v_add_f32_e32 v147, v53, v147
	v_fmac_f32_e32 v148, 0x3f575c64, v57
	v_mul_f32_e32 v173, 0xbf4178ce, v140
	v_add_f32_e32 v147, v148, v147
	v_mov_b32_e32 v148, v173
	v_fmac_f32_e32 v148, 0xbf27a4f4, v59
	v_mul_f32_e32 v174, 0x3f68dda4, v145
	v_add_f32_e32 v147, v148, v147
	v_mov_b32_e32 v148, v174
	;; [unrolled: 4-line block ×3, first 2 shown]
	v_fmac_f32_e32 v148, 0xbe11bafb, v116
	v_mul_f32_e32 v176, 0xbe903f40, v126
	v_add_f32_e32 v148, v148, v147
	v_fma_f32 v147, v54, s16, -v176
	v_mul_f32_e32 v177, 0x3f0a6770, v127
	v_add_f32_e32 v147, v52, v147
	v_fma_f32 v149, v55, s4, -v177
	;; [unrolled: 3-line block ×5, first 2 shown]
	v_mul_f32_e32 v181, 0xbf4178ce, v130
	v_add_f32_e32 v147, v149, v147
	v_mov_b32_e32 v149, v181
	v_mul_f32_e32 v182, 0x3f7d64f0, v131
	v_fmac_f32_e32 v149, 0xbf27a4f4, v56
	v_mov_b32_e32 v150, v182
	v_add_f32_e32 v149, v53, v149
	v_fmac_f32_e32 v150, 0xbe11bafb, v57
	v_mul_f32_e32 v183, 0xbf0a6770, v140
	v_add_f32_e32 v149, v150, v149
	v_mov_b32_e32 v150, v183
	v_fmac_f32_e32 v150, 0x3f575c64, v59
	v_mul_f32_e32 v184, 0xbe903f40, v145
	v_add_f32_e32 v149, v150, v149
	v_mov_b32_e32 v150, v184
	;; [unrolled: 4-line block ×3, first 2 shown]
	v_fmac_f32_e32 v150, 0x3ed4b147, v116
	v_mul_f32_e32 v186, 0xbf4178ce, v126
	v_add_f32_e32 v150, v150, v149
	v_fma_f32 v149, v54, s14, -v186
	v_mul_f32_e32 v187, 0x3f7d64f0, v127
	v_add_f32_e32 v149, v52, v149
	v_fma_f32 v188, v55, s15, -v187
	v_add_f32_e32 v149, v188, v149
	v_mul_f32_e32 v188, 0xbf0a6770, v136
	v_fma_f32 v189, v58, s4, -v188
	v_add_f32_e32 v149, v189, v149
	v_mul_f32_e32 v189, 0xbe903f40, v141
	;; [unrolled: 3-line block ×3, first 2 shown]
	v_fma_f32 v191, v115, s5, -v190
	v_add_f32_e32 v62, v53, v62
	v_add_f32_e32 v149, v191, v149
	v_mul_f32_e32 v191, 0xbf7d64f0, v130
	v_add_f32_e32 v62, v62, v63
	v_add_f32_e32 v63, v52, v112
	v_mov_b32_e32 v130, v191
	v_mul_f32_e32 v192, 0x3e903f40, v131
	v_add_f32_e32 v63, v63, v64
	v_fmac_f32_e32 v130, 0xbe11bafb, v56
	v_mov_b32_e32 v131, v192
	v_add_f32_e32 v63, v63, v65
	v_add_f32_e32 v130, v53, v130
	v_fmac_f32_e32 v131, 0xbf75a155, v57
	v_mul_f32_e32 v140, 0x3f68dda4, v140
	v_add_f32_e32 v63, v63, v66
	v_add_f32_e32 v130, v131, v130
	v_mov_b32_e32 v131, v140
	v_add_f32_e32 v63, v63, v67
	v_fmac_f32_e32 v131, 0x3ed4b147, v59
	v_mul_f32_e32 v145, 0xbf0a6770, v145
	v_add_f32_e32 v63, v63, v68
	v_add_f32_e32 v130, v131, v130
	v_mov_b32_e32 v131, v145
	;; [unrolled: 6-line block ×3, first 2 shown]
	v_add_f32_e32 v61, v63, v61
	v_fma_f32 v63, v56, s16, -v171
	v_fma_f32 v65, v56, s14, -v181
	v_mul_f32_e32 v153, 0x3ed4b147, v54
	v_mul_f32_e32 v154, 0x3ed4b147, v56
	v_fmac_f32_e32 v131, 0xbf27a4f4, v116
	v_mul_f32_e32 v126, 0xbf7d64f0, v126
	v_add_f32_e32 v63, v53, v63
	v_fma_f32 v64, v57, s4, -v172
	v_add_f32_e32 v65, v53, v65
	v_fma_f32 v66, v57, s15, -v182
	v_mul_f32_e32 v157, 0xbf27a4f4, v55
	v_mul_f32_e32 v158, 0xbf27a4f4, v57
	v_add_f32_e32 v131, v131, v130
	v_fma_f32 v130, v54, s15, -v126
	v_mul_f32_e32 v127, 0x3e903f40, v127
	v_add_f32_e32 v124, v124, v154
	v_sub_f32_e32 v121, v153, v121
	v_add_f32_e32 v63, v64, v63
	v_fma_f32 v64, v59, s14, -v173
	v_add_f32_e32 v65, v66, v65
	v_fma_f32 v66, v59, s4, -v183
	v_mul_f32_e32 v161, 0xbf75a155, v58
	v_mul_f32_e32 v162, 0xbf75a155, v59
	v_add_f32_e32 v130, v52, v130
	v_fma_f32 v193, v55, s16, -v127
	v_mul_f32_e32 v136, 0x3f68dda4, v136
	v_add_f32_e32 v124, v53, v124
	v_add_f32_e32 v125, v125, v158
	;; [unrolled: 1-line block ×3, first 2 shown]
	v_sub_f32_e32 v122, v157, v122
	v_add_f32_e32 v62, v62, v105
	v_add_f32_e32 v63, v64, v63
	v_fma_f32 v64, v114, s5, -v174
	v_add_f32_e32 v65, v66, v65
	v_fma_f32 v66, v114, s16, -v184
	v_mul_f32_e32 v151, 0x3f575c64, v54
	v_mul_f32_e32 v152, 0x3f575c64, v56
	;; [unrolled: 1-line block ×4, first 2 shown]
	v_add_f32_e32 v130, v193, v130
	v_fma_f32 v193, v58, s5, -v136
	v_mul_f32_e32 v141, 0xbf0a6770, v141
	v_add_f32_e32 v124, v125, v124
	v_add_f32_e32 v125, v135, v162
	;; [unrolled: 1-line block ×3, first 2 shown]
	v_sub_f32_e32 v122, v161, v132
	v_add_f32_e32 v62, v62, v106
	v_add_f32_e32 v63, v64, v63
	v_fma_f32 v64, v116, s15, -v175
	v_fmac_f32_e32 v176, 0xbf75a155, v54
	v_add_f32_e32 v65, v66, v65
	v_fma_f32 v66, v116, s5, -v185
	v_fmac_f32_e32 v186, 0xbf27a4f4, v54
	v_mul_f32_e32 v155, 0x3ed4b147, v55
	v_mul_f32_e32 v156, 0x3ed4b147, v57
	;; [unrolled: 1-line block ×4, first 2 shown]
	v_add_f32_e32 v130, v193, v130
	v_fma_f32 v193, v60, s4, -v141
	v_mul_f32_e32 v144, 0xbf4178ce, v144
	v_add_f32_e32 v124, v125, v124
	v_add_f32_e32 v125, v139, v166
	;; [unrolled: 1-line block ×3, first 2 shown]
	v_sub_f32_e32 v122, v165, v137
	v_add_f32_e32 v119, v119, v152
	v_sub_f32_e32 v117, v151, v117
	v_add_f32_e32 v62, v62, v107
	v_add_f32_e32 v64, v64, v63
	;; [unrolled: 1-line block ×3, first 2 shown]
	v_fmac_f32_e32 v177, 0x3f575c64, v55
	v_add_f32_e32 v66, v66, v65
	v_add_f32_e32 v65, v52, v186
	v_fmac_f32_e32 v187, 0xbe11bafb, v55
	v_fma_f32 v56, v56, s15, -v191
	v_fmac_f32_e32 v126, 0xbe11bafb, v54
	v_mul_f32_e32 v159, 0xbe11bafb, v58
	v_mul_f32_e32 v160, 0xbe11bafb, v59
	v_add_f32_e32 v130, v193, v130
	v_fma_f32 v193, v115, s14, -v144
	v_add_f32_e32 v124, v125, v124
	v_add_f32_e32 v125, v143, v170
	;; [unrolled: 1-line block ×3, first 2 shown]
	v_sub_f32_e32 v122, v169, v142
	v_add_f32_e32 v119, v53, v119
	v_add_f32_e32 v120, v120, v156
	;; [unrolled: 1-line block ×3, first 2 shown]
	v_sub_f32_e32 v118, v155, v118
	v_add_f32_e32 v62, v62, v108
	v_add_f32_e32 v63, v177, v63
	v_fmac_f32_e32 v178, 0xbf27a4f4, v58
	v_add_f32_e32 v65, v187, v65
	v_fmac_f32_e32 v188, 0x3f575c64, v58
	v_add_f32_e32 v53, v53, v56
	v_fma_f32 v56, v57, s16, -v192
	v_add_f32_e32 v52, v52, v126
	v_fmac_f32_e32 v127, 0xbf75a155, v55
	v_mul_f32_e32 v163, 0xbf27a4f4, v60
	v_mul_f32_e32 v164, 0xbf27a4f4, v114
	v_add_f32_e32 v130, v193, v130
	v_add_f32_e32 v125, v125, v124
	;; [unrolled: 1-line block ×6, first 2 shown]
	v_sub_f32_e32 v118, v159, v123
	v_add_f32_e32 v62, v62, v109
	v_add_f32_e32 v63, v178, v63
	v_fmac_f32_e32 v179, 0x3ed4b147, v60
	v_add_f32_e32 v65, v188, v65
	v_fmac_f32_e32 v189, 0xbf75a155, v60
	v_add_f32_e32 v53, v56, v53
	v_fma_f32 v56, v59, s5, -v140
	v_add_f32_e32 v52, v127, v52
	v_fmac_f32_e32 v136, 0x3ed4b147, v58
	v_add_u32_e32 v54, 0x400, v95
	v_mul_f32_e32 v167, 0xbf75a155, v115
	v_mul_f32_e32 v168, 0xbf75a155, v116
	v_add_f32_e32 v119, v120, v119
	v_add_f32_e32 v120, v133, v164
	;; [unrolled: 1-line block ×3, first 2 shown]
	v_sub_f32_e32 v118, v163, v129
	v_add_f32_e32 v62, v62, v110
	v_add_f32_e32 v63, v179, v63
	v_fmac_f32_e32 v180, 0xbe11bafb, v115
	v_add_f32_e32 v65, v189, v65
	v_fmac_f32_e32 v190, 0x3ed4b147, v115
	v_add_f32_e32 v53, v56, v53
	v_fma_f32 v56, v114, s4, -v145
	v_add_f32_e32 v52, v136, v52
	v_fmac_f32_e32 v141, 0x3f575c64, v60
	ds_write2_b64 v54, v[124:125], v[130:131] offset0:70 offset1:169
	v_add_u32_e32 v54, 0x800, v95
	v_add_f32_e32 v119, v120, v119
	v_add_f32_e32 v120, v138, v168
	;; [unrolled: 1-line block ×3, first 2 shown]
	v_sub_f32_e32 v118, v167, v134
	v_add_f32_e32 v62, v62, v111
	v_add_f32_e32 v63, v180, v63
	;; [unrolled: 1-line block ×4, first 2 shown]
	v_fma_f32 v56, v116, s14, -v146
	v_add_f32_e32 v52, v141, v52
	v_fmac_f32_e32 v144, 0xbf27a4f4, v115
	ds_write2_b64 v54, v[149:150], v[147:148] offset0:140 offset1:239
	v_add_u32_e32 v54, 0x1000, v95
	v_add_f32_e32 v119, v120, v119
	v_add_f32_e32 v118, v118, v117
	;; [unrolled: 1-line block ×6, first 2 shown]
	ds_write2_b64 v54, v[63:64], v[65:66] offset0:82 offset1:181
	v_add_u32_e32 v54, 0x1800, v95
	ds_write2_b64 v95, v[61:62], v[118:119] offset1:99
	ds_write2_b64 v54, v[52:53], v[93:94] offset0:24 offset1:123
	ds_write_b64 v95, v[91:92] offset:7920
.LBB0_9:
	s_or_b64 exec, exec, s[2:3]
	v_lshlrev_b32_e32 v52, 3, v96
	v_mov_b32_e32 v53, s13
	v_add_co_u32_e32 v60, vcc, s12, v52
	v_addc_co_u32_e32 v61, vcc, 0, v53, vcc
	v_add_co_u32_e32 v52, vcc, 0x2208, v60
	v_addc_co_u32_e32 v53, vcc, 0, v61, vcc
	s_movk_i32 s2, 0x4000
	v_add_co_u32_e32 v54, vcc, s2, v60
	v_addc_co_u32_e32 v55, vcc, 0, v61, vcc
	s_waitcnt lgkmcnt(0)
	s_barrier
	global_load_dwordx2 v[56:57], v[54:55], off offset:72
	global_load_dwordx2 v[64:65], v[52:53], off offset:968
	v_add_co_u32_e32 v54, vcc, 0x2000, v60
	v_addc_co_u32_e32 v55, vcc, 0, v61, vcc
	global_load_dwordx2 v[58:59], v[54:55], off offset:520
	global_load_dwordx2 v[68:69], v[52:53], off offset:2904
	s_movk_i32 s2, 0x3000
	v_add_co_u32_e32 v54, vcc, s2, v60
	v_addc_co_u32_e32 v55, vcc, 0, v61, vcc
	global_load_dwordx2 v[70:71], v[54:55], off offset:2232
	global_load_dwordx2 v[107:108], v[52:53], off offset:3872
	;; [unrolled: 1-line block ×5, first 2 shown]
	ds_read_b64 v[60:61], v95 offset:7744
	ds_read2_b64 v[52:55], v95 offset1:121
	v_add_u32_e32 v66, 0x400, v95
	v_add_u32_e32 v119, 0x1400, v95
	;; [unrolled: 1-line block ×6, first 2 shown]
	s_waitcnt vmcnt(8) lgkmcnt(1)
	v_mul_f32_e32 v62, v61, v57
	v_mul_f32_e32 v116, v60, v57
	v_fma_f32 v115, v60, v56, -v62
	v_fmac_f32_e32 v116, v61, v56
	s_waitcnt vmcnt(7) lgkmcnt(0)
	v_mul_f32_e32 v63, v55, v65
	s_waitcnt vmcnt(6)
	v_mul_f32_e32 v56, v53, v59
	v_mul_f32_e32 v57, v52, v59
	v_fma_f32 v56, v52, v58, -v56
	v_fmac_f32_e32 v57, v53, v58
	v_mul_f32_e32 v118, v54, v65
	ds_write_b64 v95, v[56:57]
	ds_read2_b64 v[56:59], v66 offset0:114 offset1:235
	v_fma_f32 v117, v54, v64, -v63
	ds_read2_b64 v[60:63], v119 offset0:86 offset1:207
	v_fmac_f32_e32 v118, v55, v64
	ds_read2_b64 v[52:55], v120 offset0:100 offset1:221
	s_waitcnt vmcnt(5) lgkmcnt(2)
	v_mul_f32_e32 v64, v59, v69
	v_mul_f32_e32 v65, v58, v69
	s_waitcnt vmcnt(4) lgkmcnt(1)
	v_mul_f32_e32 v121, v61, v71
	v_mul_f32_e32 v69, v60, v71
	s_waitcnt vmcnt(3) lgkmcnt(0)
	v_mul_f32_e32 v122, v53, v108
	v_mul_f32_e32 v71, v52, v108
	s_waitcnt vmcnt(2)
	v_mul_f32_e32 v123, v63, v110
	v_mul_f32_e32 v108, v62, v110
	s_waitcnt vmcnt(1)
	v_mul_f32_e32 v124, v57, v112
	v_mul_f32_e32 v110, v56, v112
	;; [unrolled: 3-line block ×3, first 2 shown]
	v_fma_f32 v64, v58, v68, -v64
	v_fmac_f32_e32 v65, v59, v68
	v_fma_f32 v68, v60, v70, -v121
	v_fmac_f32_e32 v69, v61, v70
	;; [unrolled: 2-line block ×6, first 2 shown]
	ds_write2_b64 v105, v[64:65], v[70:71] offset0:107 offset1:228
	ds_write2_b64 v95, v[117:118], v[109:110] offset0:121 offset1:242
	;; [unrolled: 1-line block ×4, first 2 shown]
	s_waitcnt lgkmcnt(0)
	s_barrier
	ds_read2_b64 v[60:63], v95 offset1:121
	ds_read2_b64 v[56:59], v66 offset0:114 offset1:235
	ds_read2_b64 v[68:71], v119 offset0:86 offset1:207
	ds_read2_b64 v[107:110], v120 offset0:100 offset1:221
	ds_read_b64 v[111:112], v95 offset:7744
	s_waitcnt lgkmcnt(0)
	v_add_f32_e32 v52, v60, v58
	v_add_f32_e32 v55, v59, v69
	v_fma_f32 v65, -0.5, v55, v61
	v_add_f32_e32 v53, v58, v68
	v_sub_f32_e32 v58, v58, v68
	v_mov_b32_e32 v55, v65
	v_fmac_f32_e32 v55, 0x3f5db3d7, v58
	v_fmac_f32_e32 v65, 0xbf5db3d7, v58
	v_add_f32_e32 v58, v62, v107
	v_fma_f32 v64, -0.5, v53, v60
	v_add_f32_e32 v60, v58, v70
	v_add_f32_e32 v58, v107, v70
	v_sub_f32_e32 v53, v59, v69
	v_mov_b32_e32 v54, v64
	v_fma_f32 v62, -0.5, v58, v62
	v_fmac_f32_e32 v54, 0xbf5db3d7, v53
	v_fmac_f32_e32 v64, 0x3f5db3d7, v53
	v_add_f32_e32 v53, v61, v59
	v_sub_f32_e32 v59, v108, v71
	v_mov_b32_e32 v58, v62
	v_fmac_f32_e32 v58, 0xbf5db3d7, v59
	v_fmac_f32_e32 v62, 0x3f5db3d7, v59
	v_add_f32_e32 v59, v63, v108
	v_add_f32_e32 v61, v59, v71
	;; [unrolled: 1-line block ×3, first 2 shown]
	v_fmac_f32_e32 v63, -0.5, v59
	v_add_f32_e32 v52, v52, v68
	v_add_f32_e32 v53, v53, v69
	v_sub_f32_e32 v68, v107, v70
	v_mov_b32_e32 v59, v63
	v_add_f32_e32 v69, v109, v111
	v_fmac_f32_e32 v59, 0x3f5db3d7, v68
	v_fmac_f32_e32 v63, 0xbf5db3d7, v68
	v_add_f32_e32 v68, v56, v109
	v_fma_f32 v56, -0.5, v69, v56
	v_sub_f32_e32 v69, v110, v112
	v_mov_b32_e32 v70, v56
	v_add_f32_e32 v71, v110, v112
	v_fmac_f32_e32 v70, 0xbf5db3d7, v69
	v_fmac_f32_e32 v56, 0x3f5db3d7, v69
	v_add_f32_e32 v69, v57, v110
	v_fmac_f32_e32 v57, -0.5, v71
	v_sub_f32_e32 v107, v109, v111
	v_mov_b32_e32 v71, v57
	v_add_f32_e32 v68, v68, v111
	v_add_f32_e32 v69, v69, v112
	v_fmac_f32_e32 v71, 0x3f5db3d7, v107
	v_fmac_f32_e32 v57, 0xbf5db3d7, v107
	s_barrier
	ds_write2_b64 v99, v[52:53], v[54:55] offset1:1
	ds_write_b64 v99, v[64:65] offset:16
	ds_write2_b64 v100, v[60:61], v[58:59] offset1:1
	ds_write_b64 v100, v[62:63] offset:16
	;; [unrolled: 2-line block ×3, first 2 shown]
	s_waitcnt lgkmcnt(0)
	s_barrier
	s_and_saveexec_b64 s[2:3], s[0:1]
	s_cbranch_execz .LBB0_11
; %bb.10:
	ds_read2_b64 v[52:55], v95 offset1:99
	ds_read2_b64 v[56:59], v67 offset0:24 offset1:123
	ds_read2_b64 v[64:67], v66 offset0:70 offset1:169
	;; [unrolled: 1-line block ×4, first 2 shown]
	ds_read_b64 v[91:92], v95 offset:7920
	s_waitcnt lgkmcnt(4)
	v_mov_b32_e32 v93, v58
	v_mov_b32_e32 v94, v59
	s_waitcnt lgkmcnt(2)
	v_mov_b32_e32 v58, v60
	v_mov_b32_e32 v59, v61
	;; [unrolled: 1-line block ×4, first 2 shown]
.LBB0_11:
	s_or_b64 exec, exec, s[2:3]
	v_mul_f32_e32 v66, v13, v55
	v_mul_f32_e32 v13, v13, v54
	v_fmac_f32_e32 v66, v12, v54
	v_fma_f32 v67, v12, v55, -v13
	v_mul_f32_e32 v12, v15, v65
	v_mul_f32_e32 v13, v15, v64
	v_fmac_f32_e32 v12, v14, v64
	v_fma_f32 v14, v14, v65, -v13
	;; [unrolled: 4-line block ×5, first 2 shown]
	s_waitcnt lgkmcnt(1)
	v_mul_f32_e32 v5, v7, v69
	v_mul_f32_e32 v4, v7, v68
	v_fmac_f32_e32 v5, v6, v68
	v_fma_f32 v60, v6, v69, -v4
	v_mul_f32_e32 v6, v1, v71
	v_mul_f32_e32 v1, v1, v70
	v_fmac_f32_e32 v6, v0, v70
	v_fma_f32 v61, v0, v71, -v1
	v_mul_f32_e32 v0, v3, v56
	v_fma_f32 v62, v2, v57, -v0
	v_mul_f32_e32 v0, v17, v93
	v_fma_f32 v63, v16, v94, -v0
	s_waitcnt lgkmcnt(0)
	v_mul_f32_e32 v0, v19, v91
	v_mul_f32_e32 v59, v17, v94
	;; [unrolled: 1-line block ×3, first 2 shown]
	v_fma_f32 v64, v18, v92, -v0
	v_fmac_f32_e32 v17, v18, v91
	v_sub_f32_e32 v100, v67, v64
	v_mul_f32_e32 v11, v3, v57
	v_add_f32_e32 v0, v17, v66
	v_add_f32_e32 v109, v64, v67
	v_mul_f32_e32 v68, 0xbf0a6770, v100
	v_fmac_f32_e32 v11, v2, v56
	v_mul_f32_e32 v69, 0x3f575c64, v109
	v_fma_f32 v2, v0, s4, -v68
	v_sub_f32_e32 v1, v66, v17
	v_add_f32_e32 v4, v52, v2
	v_mov_b32_e32 v2, v69
	v_fmac_f32_e32 v2, 0xbf0a6770, v1
	v_mul_f32_e32 v71, 0xbf68dda4, v100
	v_fmac_f32_e32 v59, v16, v93
	v_add_f32_e32 v7, v53, v2
	v_mul_f32_e32 v93, 0x3ed4b147, v109
	v_fma_f32 v2, v0, s5, -v71
	v_add_f32_e32 v16, v52, v2
	v_mov_b32_e32 v2, v93
	v_fmac_f32_e32 v2, 0xbf68dda4, v1
	v_sub_f32_e32 v108, v14, v63
	v_add_f32_e32 v18, v53, v2
	v_add_f32_e32 v2, v59, v12
	;; [unrolled: 1-line block ×3, first 2 shown]
	v_mul_f32_e32 v70, 0xbf68dda4, v108
	v_mul_f32_e32 v91, 0x3ed4b147, v115
	v_fma_f32 v19, v2, s5, -v70
	v_sub_f32_e32 v3, v12, v59
	v_add_f32_e32 v19, v19, v4
	v_mov_b32_e32 v4, v91
	v_fmac_f32_e32 v4, 0xbf68dda4, v3
	s_mov_b32 s12, 0xbf27a4f4
	v_mul_f32_e32 v94, 0xbf4178ce, v108
	v_add_f32_e32 v54, v4, v7
	v_mul_f32_e32 v105, 0xbf27a4f4, v115
	v_fma_f32 v4, v2, s12, -v94
	v_add_f32_e32 v16, v4, v16
	v_mov_b32_e32 v4, v105
	v_fmac_f32_e32 v4, 0xbf4178ce, v3
	v_sub_f32_e32 v112, v15, v62
	v_add_f32_e32 v18, v4, v18
	v_add_f32_e32 v4, v11, v13
	;; [unrolled: 1-line block ×3, first 2 shown]
	s_mov_b32 s13, 0xbe11bafb
	v_mul_f32_e32 v92, 0xbf7d64f0, v112
	v_mul_f32_e32 v99, 0xbe11bafb, v119
	v_fma_f32 v55, v4, s13, -v92
	v_sub_f32_e32 v7, v13, v11
	v_add_f32_e32 v19, v55, v19
	v_mov_b32_e32 v55, v99
	v_fmac_f32_e32 v55, 0xbf7d64f0, v7
	s_mov_b32 s14, 0xbf75a155
	v_mul_f32_e32 v106, 0x3e903f40, v112
	v_add_f32_e32 v54, v55, v54
	v_mul_f32_e32 v111, 0xbf75a155, v119
	v_fma_f32 v55, v4, s14, -v106
	v_add_f32_e32 v55, v55, v16
	v_mov_b32_e32 v16, v111
	v_fmac_f32_e32 v16, 0x3e903f40, v7
	v_sub_f32_e32 v117, v10, v61
	v_add_f32_e32 v56, v16, v18
	v_add_f32_e32 v16, v6, v8
	;; [unrolled: 1-line block ×3, first 2 shown]
	v_mul_f32_e32 v101, 0xbf4178ce, v117
	v_mul_f32_e32 v107, 0xbf27a4f4, v122
	v_fma_f32 v57, v16, s12, -v101
	v_sub_f32_e32 v18, v8, v6
	v_add_f32_e32 v57, v57, v19
	v_mov_b32_e32 v19, v107
	v_fmac_f32_e32 v19, 0xbf4178ce, v18
	v_mul_f32_e32 v113, 0x3f7d64f0, v117
	v_add_f32_e32 v54, v19, v54
	v_mul_f32_e32 v116, 0xbe11bafb, v122
	v_fma_f32 v19, v16, s13, -v113
	v_add_f32_e32 v55, v19, v55
	v_mov_b32_e32 v19, v116
	v_fmac_f32_e32 v19, 0x3f7d64f0, v18
	v_sub_f32_e32 v121, v58, v60
	v_add_f32_e32 v124, v19, v56
	v_add_f32_e32 v19, v5, v9
	;; [unrolled: 1-line block ×3, first 2 shown]
	v_mul_f32_e32 v110, 0xbe903f40, v121
	v_mul_f32_e32 v114, 0xbf75a155, v123
	v_fma_f32 v56, v19, s14, -v110
	v_sub_f32_e32 v65, v9, v5
	v_add_f32_e32 v56, v56, v57
	v_mov_b32_e32 v57, v114
	v_fmac_f32_e32 v57, 0xbe903f40, v65
	v_mul_f32_e32 v118, 0x3f0a6770, v121
	v_add_f32_e32 v57, v57, v54
	v_mul_f32_e32 v120, 0x3f575c64, v123
	v_fma_f32 v54, v19, s4, -v118
	v_add_f32_e32 v54, v54, v55
	v_mov_b32_e32 v55, v120
	v_fmac_f32_e32 v55, 0x3f0a6770, v65
	v_add_f32_e32 v55, v55, v124
	s_barrier
	s_and_saveexec_b64 s[2:3], s[0:1]
	s_cbranch_execz .LBB0_13
; %bb.12:
	v_mul_f32_e32 v148, 0xbf75a155, v109
	v_mov_b32_e32 v124, v148
	v_mul_f32_e32 v149, 0x3f575c64, v115
	v_fmac_f32_e32 v124, 0x3e903f40, v1
	v_mov_b32_e32 v125, v149
	v_add_f32_e32 v124, v53, v124
	v_fmac_f32_e32 v125, 0xbf0a6770, v3
	v_mul_f32_e32 v150, 0xbf27a4f4, v119
	v_add_f32_e32 v124, v125, v124
	v_mov_b32_e32 v125, v150
	v_fmac_f32_e32 v125, 0x3f4178ce, v7
	v_mul_f32_e32 v151, 0x3ed4b147, v122
	v_add_f32_e32 v124, v125, v124
	v_mov_b32_e32 v125, v151
	v_fmac_f32_e32 v125, 0xbf68dda4, v18
	v_mul_f32_e32 v152, 0xbe11bafb, v123
	v_add_f32_e32 v124, v125, v124
	v_mov_b32_e32 v125, v152
	v_fmac_f32_e32 v125, 0x3f7d64f0, v65
	v_mul_f32_e32 v153, 0xbe903f40, v100
	v_add_f32_e32 v125, v125, v124
	v_mov_b32_e32 v124, v153
	v_mul_f32_e32 v154, 0x3f0a6770, v108
	v_fmac_f32_e32 v124, 0xbf75a155, v0
	v_mov_b32_e32 v126, v154
	v_add_f32_e32 v124, v52, v124
	v_fmac_f32_e32 v126, 0x3f575c64, v2
	v_mul_f32_e32 v155, 0xbf4178ce, v112
	v_add_f32_e32 v124, v126, v124
	v_mov_b32_e32 v126, v155
	v_fmac_f32_e32 v126, 0xbf27a4f4, v4
	v_mul_f32_e32 v156, 0x3f68dda4, v117
	v_add_f32_e32 v124, v126, v124
	v_mov_b32_e32 v126, v156
	v_fmac_f32_e32 v126, 0x3ed4b147, v16
	v_mul_f32_e32 v157, 0xbf7d64f0, v121
	v_add_f32_e32 v124, v126, v124
	v_mov_b32_e32 v126, v157
	v_fmac_f32_e32 v126, 0xbe11bafb, v19
	v_mul_f32_e32 v158, 0xbf27a4f4, v109
	v_add_f32_e32 v124, v126, v124
	;; [unrolled: 20-line block ×3, first 2 shown]
	v_mov_b32_e32 v126, v163
	v_mul_f32_e32 v164, 0x3f7d64f0, v108
	v_fmac_f32_e32 v126, 0xbf27a4f4, v0
	v_mov_b32_e32 v165, v164
	v_add_f32_e32 v126, v52, v126
	v_fmac_f32_e32 v165, 0xbe11bafb, v2
	v_add_f32_e32 v126, v165, v126
	v_mul_f32_e32 v165, 0xbf0a6770, v112
	v_mov_b32_e32 v166, v165
	v_fmac_f32_e32 v166, 0x3f575c64, v4
	v_add_f32_e32 v126, v166, v126
	v_mul_f32_e32 v166, 0xbe903f40, v117
	v_mov_b32_e32 v167, v166
	;; [unrolled: 4-line block ×3, first 2 shown]
	v_add_f32_e32 v67, v67, v53
	v_fmac_f32_e32 v168, 0x3ed4b147, v19
	v_add_f32_e32 v14, v14, v67
	v_add_f32_e32 v126, v168, v126
	v_mul_f32_e32 v168, 0xbe11bafb, v109
	v_add_f32_e32 v14, v15, v14
	v_mov_b32_e32 v109, v168
	v_mul_f32_e32 v115, 0xbf75a155, v115
	v_add_f32_e32 v10, v10, v14
	v_add_f32_e32 v14, v52, v66
	v_fmac_f32_e32 v109, 0x3f7d64f0, v1
	v_mov_b32_e32 v169, v115
	v_add_f32_e32 v12, v12, v14
	v_add_f32_e32 v109, v53, v109
	v_fmac_f32_e32 v169, 0xbe903f40, v3
	v_mul_f32_e32 v119, 0x3ed4b147, v119
	v_add_f32_e32 v12, v13, v12
	v_add_f32_e32 v109, v169, v109
	v_mov_b32_e32 v169, v119
	v_add_f32_e32 v8, v8, v12
	v_fmac_f32_e32 v169, 0xbf68dda4, v7
	v_mul_f32_e32 v122, 0x3f575c64, v122
	v_add_f32_e32 v8, v9, v8
	v_add_f32_e32 v109, v169, v109
	v_mov_b32_e32 v169, v122
	;; [unrolled: 6-line block ×3, first 2 shown]
	v_add_f32_e32 v5, v11, v5
	v_fmac_f32_e32 v169, 0x3f4178ce, v65
	v_mul_f32_e32 v100, 0xbf7d64f0, v100
	v_add_f32_e32 v5, v59, v5
	v_fmac_f32_e32 v148, 0xbe903f40, v1
	v_add_f32_e32 v109, v169, v109
	v_mov_b32_e32 v169, v100
	v_mul_f32_e32 v170, 0x3e903f40, v108
	v_add_f32_e32 v9, v17, v5
	v_add_f32_e32 v5, v53, v148
	v_fmac_f32_e32 v149, 0x3f0a6770, v3
	v_fmac_f32_e32 v169, 0xbe11bafb, v0
	v_mov_b32_e32 v108, v170
	v_add_f32_e32 v5, v149, v5
	v_fmac_f32_e32 v150, 0xbf4178ce, v7
	v_add_f32_e32 v169, v52, v169
	v_fmac_f32_e32 v108, 0xbf75a155, v2
	;; [unrolled: 2-line block ×3, first 2 shown]
	v_add_f32_e32 v108, v108, v169
	v_mul_f32_e32 v169, 0x3f68dda4, v112
	v_add_f32_e32 v5, v151, v5
	v_fmac_f32_e32 v152, 0xbf7d64f0, v65
	v_mul_f32_e32 v131, 0xbf68dda4, v1
	v_mov_b32_e32 v112, v169
	v_add_f32_e32 v6, v152, v5
	v_fma_f32 v5, v0, s14, -v153
	v_mul_f32_e32 v135, 0xbf4178ce, v3
	v_fmac_f32_e32 v112, 0x3ed4b147, v4
	v_mul_f32_e32 v117, 0xbf0a6770, v117
	v_sub_f32_e32 v93, v93, v131
	v_add_f32_e32 v5, v52, v5
	v_fma_f32 v8, v2, s4, -v154
	v_mul_f32_e32 v139, 0x3e903f40, v7
	v_add_f32_e32 v108, v112, v108
	v_mov_b32_e32 v112, v117
	v_add_f32_e32 v93, v53, v93
	v_sub_f32_e32 v105, v105, v135
	v_add_f32_e32 v5, v8, v5
	v_fma_f32 v8, v4, s12, -v155
	v_mul_f32_e32 v143, 0x3f7d64f0, v18
	v_fmac_f32_e32 v112, 0x3f575c64, v16
	v_mul_f32_e32 v121, 0xbf4178ce, v121
	v_add_f32_e32 v93, v105, v93
	v_sub_f32_e32 v105, v111, v139
	v_add_f32_e32 v5, v8, v5
	v_fma_f32 v8, v16, s5, -v156
	v_mul_f32_e32 v130, 0x3ed4b147, v0
	v_mul_f32_e32 v147, 0x3f0a6770, v65
	v_add_f32_e32 v108, v112, v108
	v_mov_b32_e32 v112, v121
	v_add_f32_e32 v93, v105, v93
	v_sub_f32_e32 v105, v116, v143
	v_add_f32_e32 v5, v8, v5
	v_fma_f32 v8, v19, s13, -v157
	v_fmac_f32_e32 v158, 0xbf4178ce, v1
	v_mul_f32_e32 v134, 0xbf27a4f4, v2
	v_fmac_f32_e32 v112, 0xbf27a4f4, v19
	v_add_f32_e32 v93, v105, v93
	v_sub_f32_e32 v105, v120, v147
	v_add_f32_e32 v71, v130, v71
	v_add_f32_e32 v5, v8, v5
	;; [unrolled: 1-line block ×3, first 2 shown]
	v_fmac_f32_e32 v159, 0x3f7d64f0, v3
	v_mul_f32_e32 v138, 0xbf75a155, v4
	v_add_f32_e32 v108, v112, v108
	v_add_f32_e32 v112, v105, v93
	;; [unrolled: 1-line block ×5, first 2 shown]
	v_fmac_f32_e32 v160, 0xbf0a6770, v7
	v_mul_f32_e32 v142, 0xbe11bafb, v16
	v_add_f32_e32 v71, v93, v71
	v_add_f32_e32 v93, v138, v106
	;; [unrolled: 1-line block ×3, first 2 shown]
	v_fmac_f32_e32 v161, 0xbe903f40, v18
	v_mul_f32_e32 v128, 0x3f575c64, v0
	v_mul_f32_e32 v129, 0xbf0a6770, v1
	;; [unrolled: 1-line block ×3, first 2 shown]
	v_add_f32_e32 v71, v93, v71
	v_add_f32_e32 v93, v142, v113
	;; [unrolled: 1-line block ×3, first 2 shown]
	v_fmac_f32_e32 v162, 0x3f68dda4, v65
	v_mul_f32_e32 v132, 0x3ed4b147, v2
	v_mul_f32_e32 v133, 0xbf68dda4, v3
	v_add_f32_e32 v71, v93, v71
	v_add_f32_e32 v93, v146, v118
	v_sub_f32_e32 v69, v69, v129
	v_add_f32_e32 v68, v128, v68
	v_add_f32_e32 v10, v58, v10
	;; [unrolled: 1-line block ×3, first 2 shown]
	v_fma_f32 v8, v0, s12, -v163
	v_fma_f32 v0, v0, s13, -v100
	v_mul_f32_e32 v136, 0xbe11bafb, v4
	v_mul_f32_e32 v137, 0xbf7d64f0, v7
	v_add_f32_e32 v111, v93, v71
	v_add_f32_e32 v69, v53, v69
	v_sub_f32_e32 v71, v91, v133
	v_add_f32_e32 v68, v52, v68
	v_add_f32_e32 v70, v132, v70
	;; [unrolled: 1-line block ×3, first 2 shown]
	v_fma_f32 v11, v2, s13, -v164
	v_fmac_f32_e32 v168, 0xbf7d64f0, v1
	v_add_f32_e32 v0, v52, v0
	v_fma_f32 v2, v2, s14, -v170
	v_mul_f32_e32 v140, 0xbf27a4f4, v16
	v_mul_f32_e32 v141, 0xbf4178ce, v18
	v_add_f32_e32 v69, v71, v69
	v_sub_f32_e32 v71, v99, v137
	v_add_f32_e32 v68, v70, v68
	v_add_f32_e32 v70, v136, v92
	;; [unrolled: 1-line block ×5, first 2 shown]
	v_fmac_f32_e32 v115, 0x3e903f40, v3
	v_add_f32_e32 v0, v2, v0
	v_fma_f32 v2, v4, s5, -v169
	v_mul_f32_e32 v144, 0xbf75a155, v19
	v_mul_f32_e32 v145, 0xbe903f40, v65
	v_add_f32_e32 v69, v71, v69
	v_sub_f32_e32 v71, v107, v141
	v_add_f32_e32 v68, v70, v68
	v_add_f32_e32 v70, v140, v101
	;; [unrolled: 1-line block ×4, first 2 shown]
	v_fma_f32 v11, v4, s4, -v165
	v_add_f32_e32 v1, v115, v1
	v_fmac_f32_e32 v119, 0x3f68dda4, v7
	v_add_f32_e32 v0, v2, v0
	v_fma_f32 v2, v16, s4, -v117
	v_add_f32_e32 v69, v71, v69
	v_sub_f32_e32 v71, v114, v145
	v_add_f32_e32 v68, v70, v68
	v_add_f32_e32 v70, v144, v110
	;; [unrolled: 1-line block ×4, first 2 shown]
	v_fma_f32 v11, v16, s14, -v166
	v_add_f32_e32 v1, v119, v1
	v_fmac_f32_e32 v122, 0xbf0a6770, v18
	v_add_f32_e32 v0, v2, v0
	v_fma_f32 v2, v19, s12, -v121
	v_add_f32_e32 v69, v71, v69
	v_add_f32_e32 v68, v70, v68
	;; [unrolled: 1-line block ×4, first 2 shown]
	v_fma_f32 v11, v19, s5, -v167
	v_add_f32_e32 v1, v122, v1
	v_fmac_f32_e32 v123, 0xbf4178ce, v65
	v_add_f32_e32 v0, v2, v0
	v_add_lshl_u32 v2, v98, v97, 3
	v_add_f32_e32 v11, v11, v8
	v_add_f32_e32 v1, v123, v1
	ds_write2_b64 v2, v[9:10], v[68:69] offset1:3
	ds_write2_b64 v2, v[111:112], v[108:109] offset0:6 offset1:9
	ds_write2_b64 v2, v[126:127], v[124:125] offset0:12 offset1:15
	;; [unrolled: 1-line block ×4, first 2 shown]
	ds_write_b64 v2, v[56:57] offset:240
.LBB0_13:
	s_or_b64 exec, exec, s[2:3]
	v_add_u32_e32 v52, 0x400, v95
	s_waitcnt lgkmcnt(0)
	s_barrier
	ds_read2_b64 v[8:11], v52 offset0:114 offset1:235
	v_add_u32_e32 v0, 0x1400, v95
	ds_read2_b64 v[0:3], v0 offset0:86 offset1:207
	v_add_u32_e32 v12, 0xc00, v95
	ds_read2_b64 v[4:7], v95 offset1:121
	ds_read2_b64 v[12:15], v12 offset0:100 offset1:221
	ds_read_b64 v[16:17], v95 offset:7744
	s_waitcnt lgkmcnt(4)
	v_mul_f32_e32 v18, v29, v11
	v_fmac_f32_e32 v18, v28, v10
	v_mul_f32_e32 v10, v29, v10
	v_fma_f32 v10, v28, v11, -v10
	s_waitcnt lgkmcnt(3)
	v_mul_f32_e32 v11, v31, v1
	v_fmac_f32_e32 v11, v30, v0
	v_mul_f32_e32 v0, v31, v0
	v_fma_f32 v19, v30, v1, -v0
	s_waitcnt lgkmcnt(1)
	v_mul_f32_e32 v28, v21, v13
	v_mul_f32_e32 v0, v21, v12
	v_fmac_f32_e32 v28, v20, v12
	v_fma_f32 v20, v20, v13, -v0
	v_mul_f32_e32 v21, v23, v3
	v_mul_f32_e32 v0, v23, v2
	v_fmac_f32_e32 v21, v22, v2
	v_fma_f32 v22, v22, v3, -v0
	v_mul_f32_e32 v0, v33, v14
	v_add_f32_e32 v3, v10, v19
	v_fma_f32 v29, v32, v15, -v0
	s_waitcnt lgkmcnt(0)
	v_mul_f32_e32 v0, v35, v16
	v_add_f32_e32 v1, v18, v11
	v_fma_f32 v13, -0.5, v3, v5
	v_fma_f32 v31, v34, v17, -v0
	v_add_f32_e32 v0, v4, v18
	v_fma_f32 v12, -0.5, v1, v4
	v_sub_f32_e32 v4, v18, v11
	v_mov_b32_e32 v3, v13
	v_mul_f32_e32 v23, v33, v15
	v_fmac_f32_e32 v3, 0x3f5db3d7, v4
	v_fmac_f32_e32 v13, 0xbf5db3d7, v4
	v_add_f32_e32 v4, v6, v28
	v_fmac_f32_e32 v23, v32, v14
	v_add_f32_e32 v14, v4, v21
	v_add_f32_e32 v4, v28, v21
	v_sub_f32_e32 v1, v10, v19
	v_mov_b32_e32 v2, v12
	v_fma_f32 v6, -0.5, v4, v6
	v_fmac_f32_e32 v2, 0xbf5db3d7, v1
	v_fmac_f32_e32 v12, 0x3f5db3d7, v1
	v_add_f32_e32 v1, v5, v10
	v_sub_f32_e32 v5, v20, v22
	v_mov_b32_e32 v4, v6
	v_fmac_f32_e32 v4, 0xbf5db3d7, v5
	v_fmac_f32_e32 v6, 0x3f5db3d7, v5
	v_add_f32_e32 v5, v7, v20
	v_add_f32_e32 v15, v5, v22
	;; [unrolled: 1-line block ×3, first 2 shown]
	v_fmac_f32_e32 v7, -0.5, v5
	v_mul_f32_e32 v30, v35, v17
	v_sub_f32_e32 v10, v28, v21
	v_mov_b32_e32 v5, v7
	v_fmac_f32_e32 v30, v34, v16
	v_fmac_f32_e32 v5, 0x3f5db3d7, v10
	;; [unrolled: 1-line block ×3, first 2 shown]
	v_add_f32_e32 v10, v8, v23
	v_add_f32_e32 v16, v10, v30
	;; [unrolled: 1-line block ×3, first 2 shown]
	v_fma_f32 v8, -0.5, v10, v8
	v_sub_f32_e32 v10, v29, v31
	v_mov_b32_e32 v18, v8
	v_fmac_f32_e32 v18, 0xbf5db3d7, v10
	v_fmac_f32_e32 v8, 0x3f5db3d7, v10
	v_add_f32_e32 v10, v9, v29
	v_add_f32_e32 v17, v10, v31
	;; [unrolled: 1-line block ×3, first 2 shown]
	v_fmac_f32_e32 v9, -0.5, v10
	v_add_f32_e32 v1, v1, v19
	v_sub_f32_e32 v10, v23, v30
	v_mov_b32_e32 v19, v9
	v_add_f32_e32 v0, v0, v11
	v_fmac_f32_e32 v19, 0x3f5db3d7, v10
	v_fmac_f32_e32 v9, 0xbf5db3d7, v10
	s_barrier
	ds_write2_b64 v102, v[0:1], v[2:3] offset1:33
	ds_write_b64 v102, v[12:13] offset:528
	ds_write2_b64 v103, v[14:15], v[4:5] offset1:33
	ds_write_b64 v103, v[6:7] offset:528
	;; [unrolled: 2-line block ×3, first 2 shown]
	s_waitcnt lgkmcnt(0)
	s_barrier
	s_and_saveexec_b64 s[2:3], s[0:1]
	s_cbranch_execz .LBB0_15
; %bb.14:
	v_add_u32_e32 v4, 0x800, v95
	ds_read2_b64 v[0:3], v95 offset1:99
	ds_read2_b64 v[12:15], v52 offset0:70 offset1:169
	ds_read2_b64 v[4:7], v4 offset0:140 offset1:239
	v_add_u32_e32 v16, 0x1000, v95
	v_add_u32_e32 v8, 0x1800, v95
	ds_read2_b64 v[8:11], v8 offset0:24 offset1:123
	ds_read2_b64 v[16:19], v16 offset0:82 offset1:181
	ds_read_b64 v[56:57], v95 offset:7920
	s_waitcnt lgkmcnt(2)
	v_mov_b32_e32 v54, v10
	v_mov_b32_e32 v55, v11
.LBB0_15:
	s_or_b64 exec, exec, s[2:3]
	s_and_saveexec_b64 s[2:3], s[0:1]
	s_cbranch_execz .LBB0_17
; %bb.16:
	s_waitcnt lgkmcnt(0)
	v_mul_f32_e32 v10, v51, v56
	v_fma_f32 v20, v50, v57, -v10
	v_mul_f32_e32 v10, v45, v2
	v_fma_f32 v21, v44, v3, -v10
	v_mul_f32_e32 v23, v45, v3
	v_mul_f32_e32 v3, v49, v54
	v_fma_f32 v30, v48, v55, -v3
	v_mul_f32_e32 v3, v47, v12
	v_add_f32_e32 v10, v20, v21
	v_mul_f32_e32 v28, v51, v57
	v_fma_f32 v31, v46, v13, -v3
	v_mul_f32_e32 v33, v47, v13
	v_mul_f32_e32 v22, 0xbf75a155, v10
	v_fmac_f32_e32 v23, v44, v2
	v_fmac_f32_e32 v28, v50, v56
	v_add_f32_e32 v11, v30, v31
	v_fmac_f32_e32 v33, v46, v12
	v_mul_f32_e32 v12, v49, v55
	v_sub_f32_e32 v29, v23, v28
	v_mov_b32_e32 v2, v22
	v_mul_f32_e32 v32, 0x3f575c64, v11
	v_fmac_f32_e32 v12, v48, v54
	v_fmac_f32_e32 v2, 0x3e903f40, v29
	v_sub_f32_e32 v34, v33, v12
	v_mov_b32_e32 v3, v32
	v_add_f32_e32 v2, v1, v2
	v_fmac_f32_e32 v3, 0xbf0a6770, v34
	v_add_f32_e32 v2, v3, v2
	v_mul_f32_e32 v3, v39, v8
	v_fma_f32 v13, v38, v9, -v3
	v_mul_f32_e32 v3, v41, v14
	v_fma_f32 v35, v40, v15, -v3
	v_mul_f32_e32 v15, v41, v15
	v_add_f32_e32 v44, v13, v35
	v_fmac_f32_e32 v15, v40, v14
	v_mul_f32_e32 v14, v39, v9
	v_mul_f32_e32 v45, 0xbf27a4f4, v44
	v_fmac_f32_e32 v14, v38, v8
	v_sub_f32_e32 v38, v15, v14
	v_mov_b32_e32 v3, v45
	v_fmac_f32_e32 v3, 0x3f4178ce, v38
	v_add_f32_e32 v2, v3, v2
	v_mul_f32_e32 v3, v37, v18
	v_fma_f32 v39, v36, v19, -v3
	v_mul_f32_e32 v3, v43, v4
	v_fma_f32 v40, v42, v5, -v3
	v_add_f32_e32 v41, v39, v40
	v_mul_f32_e32 v43, v43, v5
	v_mul_f32_e32 v19, v37, v19
	;; [unrolled: 1-line block ×3, first 2 shown]
	v_fmac_f32_e32 v43, v42, v4
	v_fmac_f32_e32 v19, v36, v18
	v_sub_f32_e32 v36, v43, v19
	v_mov_b32_e32 v3, v46
	v_fmac_f32_e32 v3, 0xbf68dda4, v36
	v_add_f32_e32 v2, v3, v2
	v_mul_f32_e32 v3, v27, v16
	v_fma_f32 v18, v26, v17, -v3
	v_mul_f32_e32 v3, v25, v6
	v_fma_f32 v37, v24, v7, -v3
	v_add_f32_e32 v42, v18, v37
	v_mul_f32_e32 v25, v25, v7
	v_mul_f32_e32 v17, v27, v17
	;; [unrolled: 1-line block ×3, first 2 shown]
	v_fmac_f32_e32 v25, v24, v6
	v_fmac_f32_e32 v17, v26, v16
	v_sub_f32_e32 v24, v25, v17
	v_mov_b32_e32 v3, v47
	v_sub_f32_e32 v16, v21, v20
	v_fmac_f32_e32 v3, 0x3f7d64f0, v24
	v_mul_f32_e32 v27, 0xbe903f40, v16
	v_sub_f32_e32 v49, v31, v30
	v_add_f32_e32 v3, v3, v2
	v_add_f32_e32 v26, v28, v23
	v_mov_b32_e32 v2, v27
	v_mul_f32_e32 v50, 0x3f0a6770, v49
	v_fmac_f32_e32 v2, 0xbf75a155, v26
	v_add_f32_e32 v48, v12, v33
	v_mov_b32_e32 v4, v50
	v_sub_f32_e32 v52, v35, v13
	v_add_f32_e32 v2, v0, v2
	v_fmac_f32_e32 v4, 0x3f575c64, v48
	v_mul_f32_e32 v53, 0xbf4178ce, v52
	v_add_f32_e32 v2, v4, v2
	v_add_f32_e32 v51, v14, v15
	v_mov_b32_e32 v4, v53
	v_sub_f32_e32 v55, v40, v39
	v_fmac_f32_e32 v4, 0xbf27a4f4, v51
	v_mul_f32_e32 v56, 0x3f68dda4, v55
	v_add_f32_e32 v2, v4, v2
	v_add_f32_e32 v54, v19, v43
	v_mov_b32_e32 v4, v56
	v_sub_f32_e32 v58, v37, v18
	v_fmac_f32_e32 v4, 0x3ed4b147, v54
	v_mul_f32_e32 v59, 0xbf7d64f0, v58
	v_add_f32_e32 v2, v4, v2
	v_add_f32_e32 v57, v17, v25
	v_mov_b32_e32 v4, v59
	v_fmac_f32_e32 v4, 0xbe11bafb, v57
	v_mul_f32_e32 v60, 0xbf27a4f4, v10
	v_add_f32_e32 v2, v4, v2
	v_mov_b32_e32 v4, v60
	v_mul_f32_e32 v61, 0xbe11bafb, v11
	v_fmac_f32_e32 v4, 0x3f4178ce, v29
	v_mov_b32_e32 v5, v61
	v_add_f32_e32 v4, v1, v4
	v_fmac_f32_e32 v5, 0xbf7d64f0, v34
	v_mul_f32_e32 v62, 0x3f575c64, v44
	v_add_f32_e32 v4, v5, v4
	v_mov_b32_e32 v5, v62
	v_fmac_f32_e32 v5, 0x3f0a6770, v38
	v_mul_f32_e32 v63, 0xbf75a155, v41
	v_add_f32_e32 v4, v5, v4
	v_mov_b32_e32 v5, v63
	v_fmac_f32_e32 v5, 0x3e903f40, v36
	v_mul_f32_e32 v64, 0x3ed4b147, v42
	v_add_f32_e32 v4, v5, v4
	v_mov_b32_e32 v5, v64
	v_fmac_f32_e32 v5, 0xbf68dda4, v24
	v_mul_f32_e32 v65, 0xbf4178ce, v16
	v_add_f32_e32 v5, v5, v4
	v_mov_b32_e32 v4, v65
	v_mul_f32_e32 v66, 0x3f7d64f0, v49
	v_fmac_f32_e32 v4, 0xbf27a4f4, v26
	v_mov_b32_e32 v6, v66
	v_add_f32_e32 v4, v0, v4
	v_fmac_f32_e32 v6, 0xbe11bafb, v48
	v_mul_f32_e32 v67, 0xbf0a6770, v52
	v_add_f32_e32 v4, v6, v4
	v_mov_b32_e32 v6, v67
	v_fmac_f32_e32 v6, 0x3f575c64, v51
	v_mul_f32_e32 v68, 0xbe903f40, v55
	v_add_f32_e32 v4, v6, v4
	v_mov_b32_e32 v6, v68
	v_fmac_f32_e32 v6, 0xbf75a155, v54
	v_mul_f32_e32 v69, 0x3f68dda4, v58
	;; [unrolled: 20-line block ×5, first 2 shown]
	v_add_f32_e32 v8, v9, v8
	v_mov_b32_e32 v9, v105
	v_fmac_f32_e32 v9, 0xbf0a6770, v24
	v_mul_f32_e32 v106, 0xbf68dda4, v16
	v_add_f32_e32 v9, v9, v8
	v_mov_b32_e32 v8, v106
	v_mul_f32_e32 v107, 0xbf4178ce, v49
	v_fmac_f32_e32 v8, 0x3ed4b147, v26
	v_mov_b32_e32 v108, v107
	v_add_f32_e32 v8, v0, v8
	v_fmac_f32_e32 v108, 0xbf27a4f4, v48
	v_add_f32_e32 v8, v108, v8
	v_mul_f32_e32 v108, 0x3e903f40, v52
	v_mov_b32_e32 v109, v108
	v_fmac_f32_e32 v109, 0xbf75a155, v51
	v_add_f32_e32 v8, v109, v8
	v_mul_f32_e32 v109, 0x3f7d64f0, v55
	v_mov_b32_e32 v110, v109
	;; [unrolled: 4-line block ×4, first 2 shown]
	v_mul_f32_e32 v112, 0x3ed4b147, v11
	v_fmac_f32_e32 v10, 0x3f0a6770, v29
	v_mov_b32_e32 v11, v112
	v_add_f32_e32 v10, v1, v10
	v_fmac_f32_e32 v11, 0x3f68dda4, v34
	v_mul_f32_e32 v44, 0xbe11bafb, v44
	v_add_f32_e32 v10, v11, v10
	v_mov_b32_e32 v11, v44
	v_fmac_f32_e32 v11, 0x3f7d64f0, v38
	v_mul_f32_e32 v41, 0xbf27a4f4, v41
	v_add_f32_e32 v10, v11, v10
	v_mov_b32_e32 v11, v41
	;; [unrolled: 4-line block ×4, first 2 shown]
	v_mul_f32_e32 v49, 0xbf68dda4, v49
	v_fmac_f32_e32 v10, 0x3f575c64, v26
	v_mov_b32_e32 v16, v49
	v_add_f32_e32 v10, v0, v10
	v_fmac_f32_e32 v16, 0x3ed4b147, v48
	v_mul_f32_e32 v52, 0xbf7d64f0, v52
	v_add_f32_e32 v10, v16, v10
	v_mov_b32_e32 v16, v52
	v_fmac_f32_e32 v16, 0xbe11bafb, v51
	v_mul_f32_e32 v55, 0xbf4178ce, v55
	v_add_f32_e32 v10, v16, v10
	v_mov_b32_e32 v16, v55
	;; [unrolled: 4-line block ×3, first 2 shown]
	v_fmac_f32_e32 v16, 0xbf75a155, v57
	v_add_f32_e32 v10, v16, v10
	v_add_f32_e32 v16, v21, v1
	;; [unrolled: 1-line block ×17, first 2 shown]
	v_fmac_f32_e32 v22, 0xbe903f40, v29
	v_add_f32_e32 v12, v12, v14
	v_add_f32_e32 v14, v1, v22
	v_fmac_f32_e32 v32, 0x3f0a6770, v34
	v_add_f32_e32 v14, v32, v14
	v_fmac_f32_e32 v45, 0xbf4178ce, v38
	;; [unrolled: 2-line block ×3, first 2 shown]
	s_mov_b32 s0, 0xbf75a155
	v_add_f32_e32 v14, v46, v14
	v_fmac_f32_e32 v47, 0xbf7d64f0, v24
	s_mov_b32 s1, 0x3f575c64
	v_add_f32_e32 v15, v47, v14
	v_fma_f32 v14, v26, s0, -v27
	s_mov_b32 s4, 0xbf27a4f4
	v_add_f32_e32 v14, v0, v14
	v_fma_f32 v16, v48, s1, -v50
	v_add_f32_e32 v14, v16, v14
	v_fma_f32 v16, v51, s4, -v53
	s_mov_b32 s12, 0xbe11bafb
	v_add_f32_e32 v14, v16, v14
	v_fma_f32 v16, v54, s5, -v56
	v_add_f32_e32 v14, v16, v14
	v_fma_f32 v16, v57, s12, -v59
	v_fmac_f32_e32 v60, 0xbf4178ce, v29
	v_add_f32_e32 v14, v16, v14
	v_add_f32_e32 v16, v1, v60
	v_fmac_f32_e32 v61, 0x3f7d64f0, v34
	v_add_f32_e32 v16, v61, v16
	v_fmac_f32_e32 v62, 0xbf0a6770, v38
	;; [unrolled: 2-line block ×4, first 2 shown]
	v_add_f32_e32 v17, v64, v16
	v_fma_f32 v16, v26, s4, -v65
	v_add_f32_e32 v16, v0, v16
	v_fma_f32 v18, v48, s12, -v66
	;; [unrolled: 2-line block ×5, first 2 shown]
	v_fmac_f32_e32 v70, 0xbf7d64f0, v29
	v_add_f32_e32 v16, v18, v16
	v_add_f32_e32 v18, v1, v70
	v_fmac_f32_e32 v71, 0x3e903f40, v34
	v_add_f32_e32 v18, v71, v18
	v_fmac_f32_e32 v91, 0x3f68dda4, v38
	;; [unrolled: 2-line block ×4, first 2 shown]
	v_add_f32_e32 v13, v30, v13
	v_add_f32_e32 v19, v93, v18
	v_fma_f32 v18, v26, s12, -v94
	v_add_f32_e32 v13, v20, v13
	v_add_f32_e32 v18, v0, v18
	v_fma_f32 v20, v48, s0, -v97
	v_add_f32_e32 v18, v20, v18
	v_fma_f32 v20, v51, s5, -v98
	;; [unrolled: 2-line block ×4, first 2 shown]
	v_fmac_f32_e32 v101, 0xbf68dda4, v29
	v_add_f32_e32 v18, v20, v18
	v_add_f32_e32 v20, v1, v101
	v_fmac_f32_e32 v102, 0xbf4178ce, v34
	v_add_f32_e32 v20, v102, v20
	v_fmac_f32_e32 v103, 0x3e903f40, v38
	;; [unrolled: 2-line block ×4, first 2 shown]
	v_add_f32_e32 v21, v105, v20
	v_fma_f32 v20, v26, s5, -v106
	v_add_f32_e32 v20, v0, v20
	v_fma_f32 v22, v48, s4, -v107
	v_add_f32_e32 v20, v22, v20
	v_fma_f32 v22, v51, s0, -v108
	v_add_f32_e32 v20, v22, v20
	v_fma_f32 v22, v54, s12, -v109
	v_add_f32_e32 v20, v22, v20
	v_fma_f32 v22, v57, s1, -v110
	v_add_f32_e32 v12, v28, v12
	v_add_f32_e32 v20, v22, v20
	v_fmac_f32_e32 v111, 0xbf0a6770, v29
	v_fma_f32 v22, v26, s1, -v113
	v_add_f32_e32 v1, v1, v111
	v_fmac_f32_e32 v112, 0xbf68dda4, v34
	v_add_f32_e32 v0, v0, v22
	v_fma_f32 v22, v48, s5, -v49
	ds_write2_b64 v95, v[12:13], v[10:11] offset1:99
	v_add_u32_e32 v10, 0x400, v95
	v_add_f32_e32 v1, v112, v1
	v_fmac_f32_e32 v44, 0xbf7d64f0, v38
	v_add_f32_e32 v0, v22, v0
	v_fma_f32 v22, v51, s12, -v52
	ds_write2_b64 v10, v[8:9], v[6:7] offset0:70 offset1:169
	v_add_u32_e32 v6, 0x800, v95
	v_add_f32_e32 v1, v44, v1
	v_fmac_f32_e32 v41, 0xbf4178ce, v36
	v_add_f32_e32 v0, v22, v0
	v_fma_f32 v22, v54, s4, -v55
	ds_write2_b64 v6, v[4:5], v[2:3] offset0:140 offset1:239
	;; [unrolled: 6-line block ×3, first 2 shown]
	v_add_u32_e32 v2, 0x1800, v95
	v_add_f32_e32 v1, v42, v1
	v_add_f32_e32 v0, v22, v0
	ds_write2_b64 v2, v[18:19], v[20:21] offset0:24 offset1:123
	ds_write_b64 v95, v[0:1] offset:7920
.LBB0_17:
	s_or_b64 exec, exec, s[2:3]
	s_waitcnt lgkmcnt(0)
	s_barrier
	ds_read2_b64 v[0:3], v95 offset1:121
	v_mad_u64_u32 v[8:9], s[0:1], s10, v76, 0
	s_mov_b32 s0, 0xa3611655
	s_mov_b32 s1, 0x3f4e1709
	s_waitcnt lgkmcnt(0)
	v_mul_f32_e32 v4, v90, v1
	v_fmac_f32_e32 v4, v89, v0
	v_cvt_f64_f32_e32 v[4:5], v4
	v_mul_f32_e32 v0, v90, v0
	v_fma_f32 v0, v89, v1, -v0
	v_cvt_f64_f32_e32 v[0:1], v0
	v_mul_f64 v[4:5], v[4:5], s[0:1]
	v_mad_u64_u32 v[10:11], s[2:3], s8, v96, 0
	v_mov_b32_e32 v6, v9
	v_mad_u64_u32 v[6:7], s[2:3], s11, v76, v[6:7]
	v_mul_f64 v[0:1], v[0:1], s[0:1]
	s_mul_i32 s5, s8, 0xb58
	v_cvt_f32_f64_e32 v12, v[4:5]
	v_mov_b32_e32 v4, v11
	v_mad_u64_u32 v[14:15], s[2:3], s9, v96, v[4:5]
	v_add_u32_e32 v4, 0x400, v95
	v_mov_b32_e32 v9, v6
	ds_read2_b64 v[4:7], v4 offset0:114 offset1:235
	v_cvt_f32_f64_e32 v13, v[0:1]
	v_lshlrev_b64 v[0:1], 3, v[8:9]
	v_mov_b32_e32 v11, v14
	v_mov_b32_e32 v14, s7
	s_waitcnt lgkmcnt(0)
	v_mul_f32_e32 v8, v86, v7
	v_fmac_f32_e32 v8, v85, v6
	v_mul_f32_e32 v6, v86, v6
	v_fma_f32 v6, v85, v7, -v6
	v_cvt_f64_f32_e32 v[6:7], v6
	v_cvt_f64_f32_e32 v[8:9], v8
	v_add_co_u32_e32 v16, vcc, s6, v0
	v_addc_co_u32_e32 v17, vcc, v14, v1, vcc
	v_mul_f64 v[14:15], v[6:7], s[0:1]
	v_add_u32_e32 v6, 0x1400, v95
	v_lshlrev_b64 v[0:1], 3, v[10:11]
	v_mul_f64 v[10:11], v[8:9], s[0:1]
	ds_read2_b64 v[6:9], v6 offset0:86 offset1:207
	v_add_co_u32_e32 v0, vcc, v16, v0
	v_addc_co_u32_e32 v1, vcc, v17, v1, vcc
	global_store_dwordx2 v[0:1], v[12:13], off
	s_waitcnt lgkmcnt(0)
	v_mul_f32_e32 v12, v88, v7
	v_fmac_f32_e32 v12, v87, v6
	v_mul_f32_e32 v6, v88, v6
	v_fma_f32 v6, v87, v7, -v6
	v_cvt_f64_f32_e32 v[6:7], v6
	v_cvt_f64_f32_e32 v[12:13], v12
	v_cvt_f32_f64_e32 v10, v[10:11]
	v_cvt_f32_f64_e32 v11, v[14:15]
	v_mul_f64 v[6:7], v[6:7], s[0:1]
	v_mul_f64 v[12:13], v[12:13], s[0:1]
	s_mul_i32 s2, s9, 0xb58
	s_mul_hi_u32 s3, s8, 0xb58
	s_add_i32 s4, s3, s2
	v_mov_b32_e32 v15, s4
	v_add_co_u32_e32 v14, vcc, s5, v0
	v_mul_f32_e32 v0, v84, v3
	v_addc_co_u32_e32 v15, vcc, v1, v15, vcc
	v_fmac_f32_e32 v0, v83, v2
	global_store_dwordx2 v[14:15], v[10:11], off
	v_cvt_f32_f64_e32 v11, v[6:7]
	v_cvt_f64_f32_e32 v[6:7], v0
	v_mul_f32_e32 v0, v84, v2
	v_fma_f32 v0, v83, v3, -v0
	v_cvt_f32_f64_e32 v10, v[12:13]
	v_cvt_f64_f32_e32 v[12:13], v0
	v_add_u32_e32 v0, 0xc00, v95
	ds_read2_b64 v[0:3], v0 offset0:100 offset1:221
	v_mov_b32_e32 v16, s4
	v_add_co_u32_e32 v14, vcc, s5, v14
	v_addc_co_u32_e32 v15, vcc, v15, v16, vcc
	global_store_dwordx2 v[14:15], v[10:11], off
	v_mul_f64 v[10:11], v[12:13], s[0:1]
	s_waitcnt lgkmcnt(0)
	v_mul_f32_e32 v12, v82, v1
	v_fmac_f32_e32 v12, v81, v0
	v_mul_f32_e32 v0, v82, v0
	v_fma_f32 v0, v81, v1, -v0
	v_mul_f64 v[6:7], v[6:7], s[0:1]
	v_cvt_f64_f32_e32 v[0:1], v0
	v_cvt_f64_f32_e32 v[12:13], v12
	v_mov_b32_e32 v16, 0xffffed18
	v_mad_u64_u32 v[14:15], s[2:3], s8, v16, v[14:15]
	v_mul_f64 v[0:1], v[0:1], s[0:1]
	v_mul_f64 v[12:13], v[12:13], s[0:1]
	v_cvt_f32_f64_e32 v6, v[6:7]
	v_cvt_f32_f64_e32 v7, v[10:11]
	s_mul_i32 s2, s9, 0xffffed18
	s_sub_i32 s6, s2, s8
	v_add_u32_e32 v15, s6, v15
	global_store_dwordx2 v[14:15], v[6:7], off
	v_cvt_f32_f64_e32 v7, v[0:1]
	v_mul_f32_e32 v0, v80, v9
	v_fmac_f32_e32 v0, v79, v8
	v_mul_f32_e32 v8, v80, v8
	v_fma_f32 v8, v79, v9, -v8
	v_cvt_f32_f64_e32 v6, v[12:13]
	v_cvt_f64_f32_e32 v[0:1], v0
	v_cvt_f64_f32_e32 v[8:9], v8
	v_mov_b32_e32 v11, s4
	v_add_co_u32_e32 v10, vcc, s5, v14
	v_addc_co_u32_e32 v11, vcc, v15, v11, vcc
	global_store_dwordx2 v[10:11], v[6:7], off
	v_mul_f64 v[0:1], v[0:1], s[0:1]
	v_mul_f64 v[6:7], v[8:9], s[0:1]
	v_mul_f32_e32 v8, v75, v5
	v_fmac_f32_e32 v8, v74, v4
	v_cvt_f64_f32_e32 v[8:9], v8
	v_mul_f32_e32 v4, v75, v4
	v_fma_f32 v4, v74, v5, -v4
	v_cvt_f64_f32_e32 v[4:5], v4
	v_cvt_f32_f64_e32 v0, v[0:1]
	v_cvt_f32_f64_e32 v1, v[6:7]
	v_mul_f64 v[6:7], v[8:9], s[0:1]
	v_mul_f64 v[4:5], v[4:5], s[0:1]
	v_mov_b32_e32 v9, s4
	v_add_co_u32_e32 v8, vcc, s5, v10
	v_addc_co_u32_e32 v9, vcc, v11, v9, vcc
	global_store_dwordx2 v[8:9], v[0:1], off
	v_cvt_f32_f64_e32 v0, v[6:7]
	v_mul_f32_e32 v6, v78, v3
	v_fmac_f32_e32 v6, v77, v2
	v_mul_f32_e32 v2, v78, v2
	v_cvt_f32_f64_e32 v1, v[4:5]
	v_mad_u64_u32 v[4:5], s[2:3], s8, v16, v[8:9]
	v_fma_f32 v2, v77, v3, -v2
	v_cvt_f64_f32_e32 v[6:7], v6
	v_cvt_f64_f32_e32 v[2:3], v2
	ds_read_b64 v[8:9], v95 offset:7744
	v_add_u32_e32 v5, s6, v5
	global_store_dwordx2 v[4:5], v[0:1], off
	v_mul_f64 v[0:1], v[6:7], s[0:1]
	v_mul_f64 v[2:3], v[2:3], s[0:1]
	s_waitcnt lgkmcnt(0)
	v_mul_f32_e32 v6, v73, v9
	v_fmac_f32_e32 v6, v72, v8
	v_mul_f32_e32 v8, v73, v8
	v_fma_f32 v8, v72, v9, -v8
	v_cvt_f64_f32_e32 v[6:7], v6
	v_cvt_f64_f32_e32 v[8:9], v8
	v_cvt_f32_f64_e32 v0, v[0:1]
	v_cvt_f32_f64_e32 v1, v[2:3]
	v_mul_f64 v[2:3], v[6:7], s[0:1]
	v_mul_f64 v[6:7], v[8:9], s[0:1]
	v_mov_b32_e32 v8, s4
	v_add_co_u32_e32 v4, vcc, s5, v4
	v_addc_co_u32_e32 v5, vcc, v5, v8, vcc
	global_store_dwordx2 v[4:5], v[0:1], off
	v_cvt_f32_f64_e32 v0, v[2:3]
	v_cvt_f32_f64_e32 v1, v[6:7]
	v_mov_b32_e32 v3, s4
	v_add_co_u32_e32 v2, vcc, s5, v4
	v_addc_co_u32_e32 v3, vcc, v5, v3, vcc
	global_store_dwordx2 v[2:3], v[0:1], off
.LBB0_18:
	s_endpgm
	.section	.rodata,"a",@progbits
	.p2align	6, 0x0
	.amdhsa_kernel bluestein_single_back_len1089_dim1_sp_op_CI_CI
		.amdhsa_group_segment_fixed_size 8712
		.amdhsa_private_segment_fixed_size 0
		.amdhsa_kernarg_size 104
		.amdhsa_user_sgpr_count 6
		.amdhsa_user_sgpr_private_segment_buffer 1
		.amdhsa_user_sgpr_dispatch_ptr 0
		.amdhsa_user_sgpr_queue_ptr 0
		.amdhsa_user_sgpr_kernarg_segment_ptr 1
		.amdhsa_user_sgpr_dispatch_id 0
		.amdhsa_user_sgpr_flat_scratch_init 0
		.amdhsa_user_sgpr_private_segment_size 0
		.amdhsa_uses_dynamic_stack 0
		.amdhsa_system_sgpr_private_segment_wavefront_offset 0
		.amdhsa_system_sgpr_workgroup_id_x 1
		.amdhsa_system_sgpr_workgroup_id_y 0
		.amdhsa_system_sgpr_workgroup_id_z 0
		.amdhsa_system_sgpr_workgroup_info 0
		.amdhsa_system_vgpr_workitem_id 0
		.amdhsa_next_free_vgpr 194
		.amdhsa_next_free_sgpr 20
		.amdhsa_reserve_vcc 1
		.amdhsa_reserve_flat_scratch 0
		.amdhsa_float_round_mode_32 0
		.amdhsa_float_round_mode_16_64 0
		.amdhsa_float_denorm_mode_32 3
		.amdhsa_float_denorm_mode_16_64 3
		.amdhsa_dx10_clamp 1
		.amdhsa_ieee_mode 1
		.amdhsa_fp16_overflow 0
		.amdhsa_exception_fp_ieee_invalid_op 0
		.amdhsa_exception_fp_denorm_src 0
		.amdhsa_exception_fp_ieee_div_zero 0
		.amdhsa_exception_fp_ieee_overflow 0
		.amdhsa_exception_fp_ieee_underflow 0
		.amdhsa_exception_fp_ieee_inexact 0
		.amdhsa_exception_int_div_zero 0
	.end_amdhsa_kernel
	.text
.Lfunc_end0:
	.size	bluestein_single_back_len1089_dim1_sp_op_CI_CI, .Lfunc_end0-bluestein_single_back_len1089_dim1_sp_op_CI_CI
                                        ; -- End function
	.section	.AMDGPU.csdata,"",@progbits
; Kernel info:
; codeLenInByte = 13800
; NumSgprs: 24
; NumVgprs: 194
; ScratchSize: 0
; MemoryBound: 0
; FloatMode: 240
; IeeeMode: 1
; LDSByteSize: 8712 bytes/workgroup (compile time only)
; SGPRBlocks: 2
; VGPRBlocks: 48
; NumSGPRsForWavesPerEU: 24
; NumVGPRsForWavesPerEU: 194
; Occupancy: 1
; WaveLimiterHint : 1
; COMPUTE_PGM_RSRC2:SCRATCH_EN: 0
; COMPUTE_PGM_RSRC2:USER_SGPR: 6
; COMPUTE_PGM_RSRC2:TRAP_HANDLER: 0
; COMPUTE_PGM_RSRC2:TGID_X_EN: 1
; COMPUTE_PGM_RSRC2:TGID_Y_EN: 0
; COMPUTE_PGM_RSRC2:TGID_Z_EN: 0
; COMPUTE_PGM_RSRC2:TIDIG_COMP_CNT: 0
	.type	__hip_cuid_fde7f8defc13126a,@object ; @__hip_cuid_fde7f8defc13126a
	.section	.bss,"aw",@nobits
	.globl	__hip_cuid_fde7f8defc13126a
__hip_cuid_fde7f8defc13126a:
	.byte	0                               ; 0x0
	.size	__hip_cuid_fde7f8defc13126a, 1

	.ident	"AMD clang version 19.0.0git (https://github.com/RadeonOpenCompute/llvm-project roc-6.4.0 25133 c7fe45cf4b819c5991fe208aaa96edf142730f1d)"
	.section	".note.GNU-stack","",@progbits
	.addrsig
	.addrsig_sym __hip_cuid_fde7f8defc13126a
	.amdgpu_metadata
---
amdhsa.kernels:
  - .args:
      - .actual_access:  read_only
        .address_space:  global
        .offset:         0
        .size:           8
        .value_kind:     global_buffer
      - .actual_access:  read_only
        .address_space:  global
        .offset:         8
        .size:           8
        .value_kind:     global_buffer
      - .actual_access:  read_only
        .address_space:  global
        .offset:         16
        .size:           8
        .value_kind:     global_buffer
      - .actual_access:  read_only
        .address_space:  global
        .offset:         24
        .size:           8
        .value_kind:     global_buffer
      - .actual_access:  read_only
        .address_space:  global
        .offset:         32
        .size:           8
        .value_kind:     global_buffer
      - .offset:         40
        .size:           8
        .value_kind:     by_value
      - .address_space:  global
        .offset:         48
        .size:           8
        .value_kind:     global_buffer
      - .address_space:  global
        .offset:         56
        .size:           8
        .value_kind:     global_buffer
      - .address_space:  global
        .offset:         64
        .size:           8
        .value_kind:     global_buffer
      - .address_space:  global
        .offset:         72
        .size:           8
        .value_kind:     global_buffer
      - .offset:         80
        .size:           4
        .value_kind:     by_value
      - .address_space:  global
        .offset:         88
        .size:           8
        .value_kind:     global_buffer
      - .address_space:  global
        .offset:         96
        .size:           8
        .value_kind:     global_buffer
    .group_segment_fixed_size: 8712
    .kernarg_segment_align: 8
    .kernarg_segment_size: 104
    .language:       OpenCL C
    .language_version:
      - 2
      - 0
    .max_flat_workgroup_size: 121
    .name:           bluestein_single_back_len1089_dim1_sp_op_CI_CI
    .private_segment_fixed_size: 0
    .sgpr_count:     24
    .sgpr_spill_count: 0
    .symbol:         bluestein_single_back_len1089_dim1_sp_op_CI_CI.kd
    .uniform_work_group_size: 1
    .uses_dynamic_stack: false
    .vgpr_count:     194
    .vgpr_spill_count: 0
    .wavefront_size: 64
amdhsa.target:   amdgcn-amd-amdhsa--gfx906
amdhsa.version:
  - 1
  - 2
...

	.end_amdgpu_metadata
